;; amdgpu-corpus repo=ROCm/rocFFT kind=compiled arch=gfx950 opt=O3
	.text
	.amdgcn_target "amdgcn-amd-amdhsa--gfx950"
	.amdhsa_code_object_version 6
	.protected	fft_rtc_fwd_len3000_factors_10_3_10_10_wgs_100_tpt_100_halfLds_sp_op_CI_CI_unitstride_sbrr_C2R_dirReg ; -- Begin function fft_rtc_fwd_len3000_factors_10_3_10_10_wgs_100_tpt_100_halfLds_sp_op_CI_CI_unitstride_sbrr_C2R_dirReg
	.globl	fft_rtc_fwd_len3000_factors_10_3_10_10_wgs_100_tpt_100_halfLds_sp_op_CI_CI_unitstride_sbrr_C2R_dirReg
	.p2align	8
	.type	fft_rtc_fwd_len3000_factors_10_3_10_10_wgs_100_tpt_100_halfLds_sp_op_CI_CI_unitstride_sbrr_C2R_dirReg,@function
fft_rtc_fwd_len3000_factors_10_3_10_10_wgs_100_tpt_100_halfLds_sp_op_CI_CI_unitstride_sbrr_C2R_dirReg: ; @fft_rtc_fwd_len3000_factors_10_3_10_10_wgs_100_tpt_100_halfLds_sp_op_CI_CI_unitstride_sbrr_C2R_dirReg
; %bb.0:
	s_load_dwordx4 s[4:7], s[0:1], 0x58
	s_load_dwordx4 s[8:11], s[0:1], 0x0
	;; [unrolled: 1-line block ×3, first 2 shown]
	v_mul_u32_u24_e32 v1, 0x290, v0
	v_add_u32_sdwa v6, s2, v1 dst_sel:DWORD dst_unused:UNUSED_PAD src0_sel:DWORD src1_sel:WORD_1
	v_mov_b32_e32 v4, 0
	s_waitcnt lgkmcnt(0)
	v_cmp_lt_u64_e64 s[2:3], s[10:11], 2
	v_mov_b32_e32 v7, v4
	s_and_b64 vcc, exec, s[2:3]
	v_mov_b64_e32 v[2:3], 0
	s_cbranch_vccnz .LBB0_8
; %bb.1:
	s_load_dwordx2 s[2:3], s[0:1], 0x10
	s_add_u32 s16, s14, 8
	s_addc_u32 s17, s15, 0
	s_add_u32 s18, s12, 8
	s_addc_u32 s19, s13, 0
	s_waitcnt lgkmcnt(0)
	s_add_u32 s20, s2, 8
	v_mov_b64_e32 v[2:3], 0
	s_addc_u32 s21, s3, 0
	s_mov_b64 s[22:23], 1
	v_mov_b64_e32 v[56:57], v[2:3]
.LBB0_2:                                ; =>This Inner Loop Header: Depth=1
	s_load_dwordx2 s[24:25], s[20:21], 0x0
                                        ; implicit-def: $vgpr60_vgpr61
	s_waitcnt lgkmcnt(0)
	v_or_b32_e32 v5, s25, v7
	v_cmp_ne_u64_e32 vcc, 0, v[4:5]
	s_and_saveexec_b64 s[2:3], vcc
	s_xor_b64 s[26:27], exec, s[2:3]
	s_cbranch_execz .LBB0_4
; %bb.3:                                ;   in Loop: Header=BB0_2 Depth=1
	v_cvt_f32_u32_e32 v1, s24
	v_cvt_f32_u32_e32 v5, s25
	s_sub_u32 s2, 0, s24
	s_subb_u32 s3, 0, s25
	v_fmac_f32_e32 v1, 0x4f800000, v5
	v_rcp_f32_e32 v1, v1
	s_nop 0
	v_mul_f32_e32 v1, 0x5f7ffffc, v1
	v_mul_f32_e32 v5, 0x2f800000, v1
	v_trunc_f32_e32 v5, v5
	v_fmac_f32_e32 v1, 0xcf800000, v5
	v_cvt_u32_f32_e32 v5, v5
	v_cvt_u32_f32_e32 v1, v1
	v_mul_lo_u32 v8, s2, v5
	v_mul_hi_u32 v10, s2, v1
	v_mul_lo_u32 v9, s3, v1
	v_add_u32_e32 v10, v10, v8
	v_mul_lo_u32 v12, s2, v1
	v_add_u32_e32 v13, v10, v9
	v_mul_hi_u32 v8, v1, v12
	v_mul_hi_u32 v11, v1, v13
	v_mul_lo_u32 v10, v1, v13
	v_mov_b32_e32 v9, v4
	v_lshl_add_u64 v[8:9], v[8:9], 0, v[10:11]
	v_mul_hi_u32 v11, v5, v12
	v_mul_lo_u32 v12, v5, v12
	v_add_co_u32_e32 v8, vcc, v8, v12
	v_mul_hi_u32 v10, v5, v13
	s_nop 0
	v_addc_co_u32_e32 v8, vcc, v9, v11, vcc
	v_mov_b32_e32 v9, v4
	s_nop 0
	v_addc_co_u32_e32 v11, vcc, 0, v10, vcc
	v_mul_lo_u32 v10, v5, v13
	v_lshl_add_u64 v[8:9], v[8:9], 0, v[10:11]
	v_add_co_u32_e32 v1, vcc, v1, v8
	v_mul_lo_u32 v10, s2, v1
	s_nop 0
	v_addc_co_u32_e32 v5, vcc, v5, v9, vcc
	v_mul_lo_u32 v8, s2, v5
	v_mul_hi_u32 v9, s2, v1
	v_add_u32_e32 v8, v9, v8
	v_mul_lo_u32 v9, s3, v1
	v_add_u32_e32 v12, v8, v9
	v_mul_hi_u32 v14, v5, v10
	v_mul_lo_u32 v15, v5, v10
	v_mul_hi_u32 v9, v1, v12
	v_mul_lo_u32 v8, v1, v12
	v_mul_hi_u32 v10, v1, v10
	v_mov_b32_e32 v11, v4
	v_lshl_add_u64 v[8:9], v[10:11], 0, v[8:9]
	v_add_co_u32_e32 v8, vcc, v8, v15
	v_mul_hi_u32 v13, v5, v12
	s_nop 0
	v_addc_co_u32_e32 v8, vcc, v9, v14, vcc
	v_mul_lo_u32 v10, v5, v12
	s_nop 0
	v_addc_co_u32_e32 v11, vcc, 0, v13, vcc
	v_mov_b32_e32 v9, v4
	v_lshl_add_u64 v[8:9], v[8:9], 0, v[10:11]
	v_add_co_u32_e32 v1, vcc, v1, v8
	v_mul_hi_u32 v10, v6, v1
	s_nop 0
	v_addc_co_u32_e32 v5, vcc, v5, v9, vcc
	v_mad_u64_u32 v[8:9], s[2:3], v6, v5, 0
	v_mov_b32_e32 v11, v4
	v_lshl_add_u64 v[8:9], v[10:11], 0, v[8:9]
	v_mad_u64_u32 v[12:13], s[2:3], v7, v1, 0
	v_add_co_u32_e32 v1, vcc, v8, v12
	v_mad_u64_u32 v[10:11], s[2:3], v7, v5, 0
	s_nop 0
	v_addc_co_u32_e32 v8, vcc, v9, v13, vcc
	v_mov_b32_e32 v9, v4
	s_nop 0
	v_addc_co_u32_e32 v11, vcc, 0, v11, vcc
	v_lshl_add_u64 v[8:9], v[8:9], 0, v[10:11]
	v_mul_lo_u32 v1, s25, v8
	v_mul_lo_u32 v5, s24, v9
	v_mad_u64_u32 v[10:11], s[2:3], s24, v8, 0
	v_add3_u32 v1, v11, v5, v1
	v_sub_u32_e32 v5, v7, v1
	v_mov_b32_e32 v11, s25
	v_sub_co_u32_e32 v14, vcc, v6, v10
	v_lshl_add_u64 v[12:13], v[8:9], 0, 1
	s_nop 0
	v_subb_co_u32_e64 v5, s[2:3], v5, v11, vcc
	v_subrev_co_u32_e64 v10, s[2:3], s24, v14
	v_subb_co_u32_e32 v1, vcc, v7, v1, vcc
	s_nop 0
	v_subbrev_co_u32_e64 v5, s[2:3], 0, v5, s[2:3]
	v_cmp_le_u32_e64 s[2:3], s25, v5
	v_cmp_le_u32_e32 vcc, s25, v1
	s_nop 0
	v_cndmask_b32_e64 v11, 0, -1, s[2:3]
	v_cmp_le_u32_e64 s[2:3], s24, v10
	s_nop 1
	v_cndmask_b32_e64 v10, 0, -1, s[2:3]
	v_cmp_eq_u32_e64 s[2:3], s25, v5
	s_nop 1
	v_cndmask_b32_e64 v5, v11, v10, s[2:3]
	v_lshl_add_u64 v[10:11], v[8:9], 0, 2
	v_cmp_ne_u32_e64 s[2:3], 0, v5
	s_nop 1
	v_cndmask_b32_e64 v5, v13, v11, s[2:3]
	v_cndmask_b32_e64 v11, 0, -1, vcc
	v_cmp_le_u32_e32 vcc, s24, v14
	s_nop 1
	v_cndmask_b32_e64 v13, 0, -1, vcc
	v_cmp_eq_u32_e32 vcc, s25, v1
	s_nop 1
	v_cndmask_b32_e32 v1, v11, v13, vcc
	v_cmp_ne_u32_e32 vcc, 0, v1
	v_cndmask_b32_e64 v1, v12, v10, s[2:3]
	s_nop 0
	v_cndmask_b32_e32 v61, v9, v5, vcc
	v_cndmask_b32_e32 v60, v8, v1, vcc
.LBB0_4:                                ;   in Loop: Header=BB0_2 Depth=1
	s_andn2_saveexec_b64 s[2:3], s[26:27]
	s_cbranch_execz .LBB0_6
; %bb.5:                                ;   in Loop: Header=BB0_2 Depth=1
	v_cvt_f32_u32_e32 v1, s24
	s_sub_i32 s26, 0, s24
	v_mov_b32_e32 v61, v4
	v_rcp_iflag_f32_e32 v1, v1
	s_nop 0
	v_mul_f32_e32 v1, 0x4f7ffffe, v1
	v_cvt_u32_f32_e32 v1, v1
	v_mul_lo_u32 v5, s26, v1
	v_mul_hi_u32 v5, v1, v5
	v_add_u32_e32 v1, v1, v5
	v_mul_hi_u32 v1, v6, v1
	v_mul_lo_u32 v5, v1, s24
	v_sub_u32_e32 v5, v6, v5
	v_add_u32_e32 v8, 1, v1
	v_subrev_u32_e32 v9, s24, v5
	v_cmp_le_u32_e32 vcc, s24, v5
	s_nop 1
	v_cndmask_b32_e32 v5, v5, v9, vcc
	v_cndmask_b32_e32 v1, v1, v8, vcc
	v_add_u32_e32 v8, 1, v1
	v_cmp_le_u32_e32 vcc, s24, v5
	s_nop 1
	v_cndmask_b32_e32 v60, v1, v8, vcc
.LBB0_6:                                ;   in Loop: Header=BB0_2 Depth=1
	s_or_b64 exec, exec, s[2:3]
	v_mad_u64_u32 v[8:9], s[2:3], v60, s24, 0
	s_load_dwordx2 s[2:3], s[18:19], 0x0
	v_mul_lo_u32 v1, v61, s24
	v_mul_lo_u32 v5, v60, s25
	s_load_dwordx2 s[24:25], s[16:17], 0x0
	s_add_u32 s22, s22, 1
	v_add3_u32 v1, v9, v5, v1
	v_sub_co_u32_e32 v5, vcc, v6, v8
	s_addc_u32 s23, s23, 0
	s_nop 0
	v_subb_co_u32_e32 v1, vcc, v7, v1, vcc
	s_add_u32 s16, s16, 8
	s_waitcnt lgkmcnt(0)
	v_mul_lo_u32 v6, s2, v1
	v_mul_lo_u32 v7, s3, v5
	v_mad_u64_u32 v[2:3], s[2:3], s2, v5, v[2:3]
	s_addc_u32 s17, s17, 0
	v_add3_u32 v3, v7, v3, v6
	v_mul_lo_u32 v1, s24, v1
	v_mul_lo_u32 v6, s25, v5
	v_mad_u64_u32 v[56:57], s[2:3], s24, v5, v[56:57]
	s_add_u32 s18, s18, 8
	v_add3_u32 v57, v6, v57, v1
	s_addc_u32 s19, s19, 0
	v_mov_b64_e32 v[6:7], s[10:11]
	s_add_u32 s20, s20, 8
	v_cmp_ge_u64_e32 vcc, s[22:23], v[6:7]
	s_addc_u32 s21, s21, 0
	s_cbranch_vccnz .LBB0_9
; %bb.7:                                ;   in Loop: Header=BB0_2 Depth=1
	v_mov_b64_e32 v[6:7], v[60:61]
	s_branch .LBB0_2
.LBB0_8:
	v_mov_b64_e32 v[56:57], v[2:3]
	v_mov_b64_e32 v[60:61], v[6:7]
.LBB0_9:
	s_load_dwordx2 s[18:19], s[0:1], 0x28
	s_lshl_b64 s[16:17], s[10:11], 3
	s_add_u32 s2, s14, s16
	s_addc_u32 s3, s15, s17
                                        ; implicit-def: $vgpr58
	s_waitcnt lgkmcnt(0)
	v_cmp_gt_u64_e64 s[0:1], s[18:19], v[60:61]
	v_cmp_le_u64_e32 vcc, s[18:19], v[60:61]
	s_and_saveexec_b64 s[10:11], vcc
	s_xor_b64 s[10:11], exec, s[10:11]
; %bb.10:
	s_mov_b32 s14, 0x28f5c29
	v_mul_hi_u32 v1, v0, s14
	v_mul_u32_u24_e32 v1, 0x64, v1
	v_sub_u32_e32 v58, v0, v1
                                        ; implicit-def: $vgpr0
                                        ; implicit-def: $vgpr2_vgpr3
; %bb.11:
	s_or_saveexec_b64 s[10:11], s[10:11]
	s_load_dwordx2 s[2:3], s[2:3], 0x0
	s_xor_b64 exec, exec, s[10:11]
	s_cbranch_execz .LBB0_15
; %bb.12:
	s_add_u32 s12, s12, s16
	s_addc_u32 s13, s13, s17
	s_load_dwordx2 s[12:13], s[12:13], 0x0
	s_mov_b32 s14, 0x28f5c29
	s_waitcnt lgkmcnt(0)
	v_mul_lo_u32 v1, s13, v60
	v_mul_lo_u32 v6, s12, v61
	v_mad_u64_u32 v[4:5], s[12:13], s12, v60, 0
	v_add3_u32 v5, v5, v6, v1
	v_mul_hi_u32 v1, v0, s14
	v_mul_u32_u24_e32 v1, 0x64, v1
	v_sub_u32_e32 v58, v0, v1
	v_lshl_add_u64 v[0:1], v[4:5], 3, s[4:5]
	v_lshl_add_u64 v[2:3], v[2:3], 3, v[0:1]
	v_lshlrev_b32_e32 v0, 3, v58
	v_mov_b32_e32 v1, 0
	v_lshl_add_u64 v[4:5], v[2:3], 0, v[0:1]
	s_movk_i32 s4, 0x1000
	v_add_co_u32_e32 v8, vcc, s4, v4
	s_movk_i32 s4, 0x2000
	s_nop 0
	v_addc_co_u32_e32 v9, vcc, 0, v5, vcc
	v_add_co_u32_e32 v24, vcc, s4, v4
	s_movk_i32 s5, 0x3000
	s_nop 0
	v_addc_co_u32_e32 v25, vcc, 0, v5, vcc
	;; [unrolled: 4-line block ×3, first 2 shown]
	global_load_dwordx2 v[6:7], v[4:5], off offset:2400
	global_load_dwordx2 v[10:11], v[4:5], off offset:3200
	;; [unrolled: 1-line block ×5, first 2 shown]
	global_load_dwordx2 v[18:19], v[4:5], off
	global_load_dwordx2 v[20:21], v[4:5], off offset:1600
	global_load_dwordx2 v[22:23], v[4:5], off offset:800
	v_add_co_u32_e32 v28, vcc, s12, v4
	global_load_dwordx2 v[30:31], v[8:9], off offset:2304
	global_load_dwordx2 v[32:33], v[8:9], off offset:3104
	;; [unrolled: 1-line block ×12, first 2 shown]
	v_addc_co_u32_e32 v29, vcc, 0, v5, vcc
	v_add_co_u32_e32 v4, vcc, 0x5000, v4
	v_add_u32_e32 v0, 0, v0
	s_nop 0
	v_addc_co_u32_e32 v5, vcc, 0, v5, vcc
	global_load_dwordx2 v[8:9], v[26:27], off offset:3712
	global_load_dwordx2 v[24:25], v[28:29], off offset:416
	;; [unrolled: 1-line block ×10, first 2 shown]
	v_add_u32_e32 v4, 0x400, v0
	v_add_u32_e32 v5, 0x800, v0
	;; [unrolled: 1-line block ×10, first 2 shown]
	s_movk_i32 s4, 0x63
	v_cmp_eq_u32_e32 vcc, s4, v58
	s_waitcnt vmcnt(23)
	ds_write2_b64 v4, v[20:21], v[6:7] offset0:72 offset1:172
	ds_write2_b64 v5, v[10:11], v[12:13] offset0:144 offset1:244
	s_waitcnt vmcnt(22)
	ds_write2_b64 v0, v[18:19], v[22:23] offset1:100
	ds_write2_b64 v26, v[14:15], v[16:17] offset0:88 offset1:188
	s_waitcnt vmcnt(20)
	ds_write2_b64 v27, v[30:31], v[32:33] offset0:32 offset1:132
	s_waitcnt vmcnt(18)
	;; [unrolled: 2-line block ×7, first 2 shown]
	ds_write2_b64 v78, v[8:9], v[24:25] offset0:80 offset1:180
	v_add_u32_e32 v4, 0x4000, v0
	s_waitcnt vmcnt(6)
	ds_write2_b64 v4, v[54:55], v[62:63] offset0:152 offset1:252
	v_add_u32_e32 v4, 0x4800, v0
	s_waitcnt vmcnt(4)
	ds_write2_b64 v4, v[64:65], v[66:67] offset0:96 offset1:196
	v_add_u32_e32 v4, 0x5000, v0
	v_add_u32_e32 v0, 0x5400, v0
	s_waitcnt vmcnt(2)
	ds_write2_b64 v4, v[68:69], v[70:71] offset0:40 offset1:140
	s_waitcnt vmcnt(0)
	ds_write2_b64 v0, v[72:73], v[74:75] offset0:112 offset1:212
	s_and_saveexec_b64 s[4:5], vcc
	s_cbranch_execz .LBB0_14
; %bb.13:
	v_add_co_u32_e32 v2, vcc, 0x5000, v2
	v_mov_b32_e32 v58, 0x63
	s_nop 0
	v_addc_co_u32_e32 v3, vcc, 0, v3, vcc
	global_load_dwordx2 v[2:3], v[2:3], off offset:3520
	s_waitcnt vmcnt(0)
	ds_write_b64 v1, v[2:3] offset:24000
.LBB0_14:
	s_or_b64 exec, exec, s[4:5]
.LBB0_15:
	s_or_b64 exec, exec, s[10:11]
	v_lshlrev_b32_e32 v0, 3, v58
	v_add_u32_e32 v94, 0, v0
	s_waitcnt lgkmcnt(0)
	s_barrier
	v_sub_u32_e32 v4, 0, v0
	ds_read_b32 v0, v94
	ds_read_b32 v1, v4 offset:24000
	s_add_u32 s4, s8, 0x5d70
	s_addc_u32 s5, s9, 0
	v_cmp_ne_u32_e32 vcc, 0, v58
	s_waitcnt lgkmcnt(0)
	v_add_f32_e32 v2, v1, v0
	v_sub_f32_e32 v3, v0, v1
                                        ; implicit-def: $vgpr0_vgpr1
	s_and_saveexec_b64 s[10:11], vcc
	s_xor_b64 s[10:11], exec, s[10:11]
	s_cbranch_execz .LBB0_17
; %bb.16:
	v_mov_b32_e32 v59, 0
	v_lshl_add_u64 v[0:1], v[58:59], 3, s[4:5]
	global_load_dwordx2 v[6:7], v[0:1], off
	ds_read_b32 v5, v4 offset:24004
	ds_read_b32 v11, v94 offset:4
	v_mov_b32_e32 v8, v3
	v_mov_b32_e32 v10, v2
	;; [unrolled: 1-line block ×3, first 2 shown]
	v_mov_b64_e32 v[0:1], v[58:59]
	s_waitcnt lgkmcnt(0)
	v_add_f32_e32 v9, v5, v11
	v_sub_f32_e32 v11, v11, v5
	v_mov_b32_e32 v12, v9
	s_waitcnt vmcnt(0)
	v_pk_mul_f32 v[14:15], v[8:9], v[6:7] op_sel:[0,1]
	v_pk_fma_f32 v[8:9], v[8:9], v[6:7], v[10:11] op_sel:[0,1,0]
	v_mov_b32_e32 v3, v15
	v_mov_b32_e32 v15, v11
	v_pk_fma_f32 v[16:17], v[6:7], v[12:13], v[8:9] neg_lo:[1,0,0] neg_hi:[1,0,0]
	v_pk_fma_f32 v[8:9], v[6:7], v[12:13], v[8:9] op_sel_hi:[0,1,1]
	v_pk_add_f32 v[2:3], v[2:3], v[14:15] neg_lo:[0,1] neg_hi:[0,1]
	v_mov_b32_e32 v17, v9
	v_pk_fma_f32 v[2:3], v[6:7], v[12:13], v[2:3] op_sel_hi:[0,1,1]
	ds_write_b64 v4, v[2:3] offset:24000
	v_mov_b64_e32 v[2:3], v[16:17]
.LBB0_17:
	s_andn2_saveexec_b64 s[10:11], s[10:11]
	s_cbranch_execz .LBB0_19
; %bb.18:
	v_mov_b32_e32 v5, 0
	ds_read_b64 v[0:1], v5 offset:12000
	s_mov_b32 s12, 2.0
	s_mov_b32 s13, -2.0
	s_waitcnt lgkmcnt(0)
	v_pk_mul_f32 v[0:1], v[0:1], s[12:13]
	ds_write_b64 v5, v[0:1] offset:12000
	v_mov_b64_e32 v[0:1], 0
.LBB0_19:
	s_or_b64 exec, exec, s[10:11]
	v_lshl_add_u64 v[0:1], v[0:1], 3, s[4:5]
	global_load_dwordx2 v[6:7], v[0:1], off offset:800
	v_add_u32_e32 v62, 0xc8, v58
	v_mov_b32_e32 v63, 0
	v_lshl_add_u64 v[8:9], v[62:63], 3, s[4:5]
	global_load_dwordx2 v[8:9], v[8:9], off
	v_add_u32_e32 v64, 0x12c, v58
	v_mov_b32_e32 v65, v63
	v_lshl_add_u64 v[10:11], v[64:65], 3, s[4:5]
	global_load_dwordx2 v[10:11], v[10:11], off
	v_add_u32_e32 v66, 0x190, v58
	v_mov_b32_e32 v67, v63
	ds_write_b64 v94, v[2:3]
	v_lshl_add_u64 v[14:15], v[66:67], 3, s[4:5]
	ds_read_b64 v[2:3], v94 offset:800
	ds_read_b64 v[12:13], v4 offset:23200
	global_load_dwordx2 v[14:15], v[14:15], off
	v_add_u32_e32 v68, 0x1f4, v58
	v_mov_b32_e32 v69, v63
	v_lshl_add_u32 v59, v62, 3, 0
	s_waitcnt lgkmcnt(0)
	v_pk_add_f32 v[16:17], v[2:3], v[12:13] neg_lo:[0,1] neg_hi:[0,1]
	v_pk_add_f32 v[2:3], v[2:3], v[12:13]
	v_mov_b32_e32 v12, v16
	v_mov_b32_e32 v13, v3
	;; [unrolled: 1-line block ×6, first 2 shown]
	v_add_u32_e32 v72, 0x258, v58
	v_mov_b32_e32 v73, v63
	v_lshl_add_u32 v65, v64, 3, 0
	v_lshl_add_u32 v105, v66, 3, 0
	v_add_u32_e32 v74, 0x2bc, v58
	v_mov_b32_e32 v75, v63
	v_lshl_add_u32 v104, v68, 3, 0
	v_add_u32_e32 v76, 0x320, v58
	v_mov_b32_e32 v77, v63
	;; [unrolled: 3-line block ×3, first 2 shown]
	v_lshl_add_u32 v106, v74, 3, 0
	v_lshl_add_u32 v107, v76, 3, 0
	v_add_u32_e32 v98, 0x1000, v94
	v_add_u32_e32 v97, 0x2400, v94
	;; [unrolled: 1-line block ×6, first 2 shown]
	s_mov_b32 s10, 0x3f737871
	v_add_u32_e32 v101, 0x1800, v94
	v_add_u32_e32 v103, 0x2800, v94
	v_add_u32_e32 v100, 0x5000, v94
	s_mov_b32 s14, 0x3f167918
	s_mov_b32 s12, 0x3e9e377a
	;; [unrolled: 1-line block ×7, first 2 shown]
	s_waitcnt vmcnt(3)
	v_pk_mul_f32 v[22:23], v[12:13], v[6:7] op_sel:[0,1]
	v_pk_fma_f32 v[12:13], v[12:13], v[6:7], v[18:19] op_sel:[0,1,0]
	v_mov_b32_e32 v3, v23
	v_mov_b32_e32 v23, v17
	v_pk_fma_f32 v[18:19], v[6:7], v[20:21], v[12:13] neg_lo:[1,0,0] neg_hi:[1,0,0]
	v_pk_fma_f32 v[12:13], v[6:7], v[20:21], v[12:13] op_sel_hi:[0,1,1]
	v_pk_add_f32 v[2:3], v[2:3], v[22:23] neg_lo:[0,1] neg_hi:[0,1]
	v_mov_b32_e32 v19, v13
	v_pk_fma_f32 v[2:3], v[6:7], v[20:21], v[2:3] op_sel_hi:[0,1,1]
	ds_write_b64 v94, v[18:19] offset:800
	ds_write_b64 v4, v[2:3] offset:23200
	v_lshl_add_u64 v[12:13], v[68:69], 3, s[4:5]
	ds_read_b64 v[2:3], v4 offset:22400
	ds_read_b64 v[6:7], v59
	global_load_dwordx2 v[12:13], v[12:13], off
	v_lshl_add_u32 v69, v70, 3, 0
	s_waitcnt lgkmcnt(0)
	v_pk_add_f32 v[16:17], v[6:7], v[2:3] neg_lo:[0,1] neg_hi:[0,1]
	v_pk_add_f32 v[2:3], v[6:7], v[2:3]
	v_mov_b32_e32 v6, v16
	v_mov_b32_e32 v7, v3
	;; [unrolled: 1-line block ×4, first 2 shown]
	s_waitcnt vmcnt(3)
	v_pk_mul_f32 v[22:23], v[6:7], v[8:9] op_sel:[0,1]
	v_mov_b32_e32 v20, v3
	v_mov_b32_e32 v21, v16
	v_pk_fma_f32 v[6:7], v[6:7], v[8:9], v[18:19] op_sel:[0,1,0]
	v_mov_b32_e32 v3, v23
	v_mov_b32_e32 v23, v17
	v_pk_fma_f32 v[18:19], v[8:9], v[20:21], v[6:7] neg_lo:[1,0,0] neg_hi:[1,0,0]
	v_pk_fma_f32 v[6:7], v[8:9], v[20:21], v[6:7] op_sel_hi:[0,1,1]
	v_pk_add_f32 v[2:3], v[2:3], v[22:23] neg_lo:[0,1] neg_hi:[0,1]
	v_mov_b32_e32 v19, v7
	v_pk_fma_f32 v[2:3], v[8:9], v[20:21], v[2:3] op_sel_hi:[0,1,1]
	ds_write_b64 v59, v[18:19]
	ds_write_b64 v4, v[2:3] offset:22400
	v_lshl_add_u64 v[8:9], v[72:73], 3, s[4:5]
	ds_read_b64 v[2:3], v4 offset:21600
	ds_read_b64 v[6:7], v65
	global_load_dwordx2 v[8:9], v[8:9], off
	v_add_u32_e32 v73, 0x5400, v94
	s_waitcnt lgkmcnt(0)
	v_pk_add_f32 v[16:17], v[6:7], v[2:3] neg_lo:[0,1] neg_hi:[0,1]
	v_pk_add_f32 v[2:3], v[6:7], v[2:3]
	v_mov_b32_e32 v6, v16
	v_mov_b32_e32 v7, v3
	;; [unrolled: 1-line block ×4, first 2 shown]
	s_waitcnt vmcnt(3)
	v_pk_mul_f32 v[22:23], v[6:7], v[10:11] op_sel:[0,1]
	v_mov_b32_e32 v20, v3
	v_mov_b32_e32 v21, v16
	v_pk_fma_f32 v[6:7], v[6:7], v[10:11], v[18:19] op_sel:[0,1,0]
	v_mov_b32_e32 v3, v23
	v_mov_b32_e32 v23, v17
	v_pk_fma_f32 v[18:19], v[10:11], v[20:21], v[6:7] neg_lo:[1,0,0] neg_hi:[1,0,0]
	v_pk_fma_f32 v[6:7], v[10:11], v[20:21], v[6:7] op_sel_hi:[0,1,1]
	v_pk_add_f32 v[2:3], v[2:3], v[22:23] neg_lo:[0,1] neg_hi:[0,1]
	v_mov_b32_e32 v19, v7
	v_pk_fma_f32 v[2:3], v[10:11], v[20:21], v[2:3] op_sel_hi:[0,1,1]
	ds_write_b64 v65, v[18:19]
	ds_write_b64 v4, v[2:3] offset:21600
	ds_read_b64 v[2:3], v4 offset:20800
	ds_read_b64 v[6:7], v105
	v_lshl_add_u64 v[10:11], v[74:75], 3, s[4:5]
	global_load_dwordx2 v[10:11], v[10:11], off
	v_add_u32_e32 v75, 0x1c00, v94
	s_waitcnt lgkmcnt(0)
	v_pk_add_f32 v[16:17], v[6:7], v[2:3] neg_lo:[0,1] neg_hi:[0,1]
	v_pk_add_f32 v[2:3], v[6:7], v[2:3]
	v_mov_b32_e32 v6, v16
	v_mov_b32_e32 v7, v3
	;; [unrolled: 1-line block ×4, first 2 shown]
	s_waitcnt vmcnt(3)
	v_pk_mul_f32 v[22:23], v[6:7], v[14:15] op_sel:[0,1]
	v_mov_b32_e32 v20, v3
	v_mov_b32_e32 v21, v16
	v_pk_fma_f32 v[6:7], v[6:7], v[14:15], v[18:19] op_sel:[0,1,0]
	v_mov_b32_e32 v3, v23
	v_mov_b32_e32 v23, v17
	v_pk_fma_f32 v[18:19], v[14:15], v[20:21], v[6:7] neg_lo:[1,0,0] neg_hi:[1,0,0]
	v_pk_fma_f32 v[6:7], v[14:15], v[20:21], v[6:7] op_sel_hi:[0,1,1]
	v_pk_add_f32 v[2:3], v[2:3], v[22:23] neg_lo:[0,1] neg_hi:[0,1]
	v_mov_b32_e32 v19, v7
	v_pk_fma_f32 v[2:3], v[14:15], v[20:21], v[2:3] op_sel_hi:[0,1,1]
	ds_write_b64 v105, v[18:19]
	ds_write_b64 v4, v[2:3] offset:20800
	ds_read_b64 v[2:3], v4 offset:20000
	ds_read_b64 v[6:7], v104
	v_lshl_add_u64 v[14:15], v[76:77], 3, s[4:5]
	global_load_dwordx2 v[14:15], v[14:15], off
	v_add_u32_e32 v77, 0x3c00, v94
	s_waitcnt lgkmcnt(0)
	v_pk_add_f32 v[16:17], v[6:7], v[2:3] neg_lo:[0,1] neg_hi:[0,1]
	v_pk_add_f32 v[2:3], v[6:7], v[2:3]
	v_mov_b32_e32 v6, v16
	v_mov_b32_e32 v7, v3
	;; [unrolled: 1-line block ×4, first 2 shown]
	s_waitcnt vmcnt(3)
	v_pk_mul_f32 v[22:23], v[6:7], v[12:13] op_sel:[0,1]
	v_mov_b32_e32 v20, v3
	v_pk_fma_f32 v[6:7], v[6:7], v[12:13], v[18:19] op_sel:[0,1,0]
	v_mov_b32_e32 v21, v16
	v_mov_b32_e32 v3, v23
	v_mov_b32_e32 v23, v17
	v_pk_fma_f32 v[18:19], v[12:13], v[20:21], v[6:7] neg_lo:[1,0,0] neg_hi:[1,0,0]
	v_pk_fma_f32 v[6:7], v[12:13], v[20:21], v[6:7] op_sel_hi:[0,1,1]
	v_pk_add_f32 v[2:3], v[2:3], v[22:23] neg_lo:[0,1] neg_hi:[0,1]
	v_mov_b32_e32 v19, v7
	v_pk_fma_f32 v[2:3], v[12:13], v[20:21], v[2:3] op_sel_hi:[0,1,1]
	ds_write_b64 v104, v[18:19]
	ds_write_b64 v4, v[2:3] offset:20000
	ds_read_b64 v[2:3], v4 offset:19200
	ds_read_b64 v[6:7], v67
	s_waitcnt lgkmcnt(0)
	v_pk_add_f32 v[12:13], v[6:7], v[2:3] neg_lo:[0,1] neg_hi:[0,1]
	v_pk_add_f32 v[2:3], v[6:7], v[2:3]
	v_mov_b32_e32 v6, v12
	v_mov_b32_e32 v7, v3
	;; [unrolled: 1-line block ×4, first 2 shown]
	s_waitcnt vmcnt(2)
	v_pk_mul_f32 v[18:19], v[6:7], v[8:9] op_sel:[0,1]
	v_pk_fma_f32 v[6:7], v[6:7], v[8:9], v[16:17] op_sel:[0,1,0]
	v_mov_b32_e32 v16, v3
	v_mov_b32_e32 v17, v12
	v_pk_fma_f32 v[20:21], v[8:9], v[16:17], v[6:7] neg_lo:[1,0,0] neg_hi:[1,0,0]
	v_pk_fma_f32 v[6:7], v[8:9], v[16:17], v[6:7] op_sel_hi:[0,1,1]
	v_mov_b32_e32 v21, v7
	v_lshl_add_u64 v[6:7], v[70:71], 3, s[4:5]
	global_load_dwordx2 v[6:7], v[6:7], off
	v_mov_b32_e32 v3, v19
	v_mov_b32_e32 v19, v13
	v_pk_add_f32 v[2:3], v[2:3], v[18:19] neg_lo:[0,1] neg_hi:[0,1]
	s_movk_i32 s4, 0x1000
	v_pk_fma_f32 v[2:3], v[8:9], v[16:17], v[2:3] op_sel_hi:[0,1,1]
	v_add_co_u32_e32 v22, vcc, s4, v0
	ds_write_b64 v67, v[20:21]
	ds_write_b64 v4, v[2:3] offset:19200
	v_addc_co_u32_e32 v23, vcc, 0, v1, vcc
	ds_read_b64 v[2:3], v4 offset:18400
	ds_read_b64 v[8:9], v106
	global_load_dwordx2 v[22:23], v[22:23], off offset:3904
	s_movk_i32 s4, 0x2000
	v_add_co_u32_e32 v0, vcc, s4, v0
	s_waitcnt lgkmcnt(0)
	v_pk_add_f32 v[12:13], v[8:9], v[2:3] neg_lo:[0,1] neg_hi:[0,1]
	v_pk_add_f32 v[2:3], v[8:9], v[2:3]
	v_mov_b32_e32 v8, v12
	v_mov_b32_e32 v9, v3
	;; [unrolled: 1-line block ×4, first 2 shown]
	s_waitcnt vmcnt(3)
	v_pk_mul_f32 v[18:19], v[8:9], v[10:11] op_sel:[0,1]
	v_pk_fma_f32 v[8:9], v[8:9], v[10:11], v[16:17] op_sel:[0,1,0]
	v_mov_b32_e32 v16, v3
	v_mov_b32_e32 v17, v12
	;; [unrolled: 1-line block ×4, first 2 shown]
	v_pk_fma_f32 v[20:21], v[10:11], v[16:17], v[8:9] neg_lo:[1,0,0] neg_hi:[1,0,0]
	v_pk_fma_f32 v[8:9], v[10:11], v[16:17], v[8:9] op_sel_hi:[0,1,1]
	v_pk_add_f32 v[2:3], v[2:3], v[18:19] neg_lo:[0,1] neg_hi:[0,1]
	v_mov_b32_e32 v21, v9
	v_pk_fma_f32 v[2:3], v[10:11], v[16:17], v[2:3] op_sel_hi:[0,1,1]
	ds_write_b64 v106, v[20:21]
	ds_write_b64 v4, v[2:3] offset:18400
	v_addc_co_u32_e32 v1, vcc, 0, v1, vcc
	ds_read_b64 v[2:3], v4 offset:17600
	ds_read_b64 v[8:9], v107
	global_load_dwordx2 v[16:17], v[0:1], off offset:608
	v_add_u32_e32 v71, 0x3000, v94
	s_mov_b32 s4, 0x3f4f1bbd
	s_movk_i32 s5, 0x48
	s_waitcnt lgkmcnt(0)
	v_pk_add_f32 v[10:11], v[8:9], v[2:3] neg_lo:[0,1] neg_hi:[0,1]
	v_pk_add_f32 v[2:3], v[8:9], v[2:3]
	v_mov_b32_e32 v8, v10
	v_mov_b32_e32 v9, v3
	;; [unrolled: 1-line block ×4, first 2 shown]
	s_waitcnt vmcnt(3)
	v_pk_mul_f32 v[18:19], v[8:9], v[14:15] op_sel:[0,1]
	v_pk_fma_f32 v[8:9], v[8:9], v[14:15], v[12:13] op_sel:[0,1,0]
	v_mov_b32_e32 v12, v3
	v_mov_b32_e32 v13, v10
	;; [unrolled: 1-line block ×4, first 2 shown]
	v_pk_fma_f32 v[20:21], v[14:15], v[12:13], v[8:9] neg_lo:[1,0,0] neg_hi:[1,0,0]
	v_pk_fma_f32 v[8:9], v[14:15], v[12:13], v[8:9] op_sel_hi:[0,1,1]
	v_pk_add_f32 v[2:3], v[2:3], v[18:19] neg_lo:[0,1] neg_hi:[0,1]
	v_mov_b32_e32 v21, v9
	v_pk_fma_f32 v[2:3], v[14:15], v[12:13], v[2:3] op_sel_hi:[0,1,1]
	ds_write_b64 v107, v[20:21]
	ds_write_b64 v4, v[2:3] offset:17600
	ds_read_b64 v[2:3], v4 offset:16800
	ds_read_b64 v[8:9], v69
	global_load_dwordx2 v[12:13], v[0:1], off offset:1408
	v_mad_u32_u24 v144, v58, s5, v94
	v_add_u32_e32 v132, 0x1f50, v144
	s_waitcnt lgkmcnt(0)
	v_pk_add_f32 v[10:11], v[8:9], v[2:3] neg_lo:[0,1] neg_hi:[0,1]
	v_pk_add_f32 v[2:3], v[8:9], v[2:3]
	v_mov_b32_e32 v8, v10
	v_mov_b32_e32 v9, v3
	;; [unrolled: 1-line block ×4, first 2 shown]
	s_waitcnt vmcnt(3)
	v_pk_mul_f32 v[18:19], v[8:9], v[6:7] op_sel:[0,1]
	v_pk_fma_f32 v[8:9], v[8:9], v[6:7], v[14:15] op_sel:[0,1,0]
	v_mov_b32_e32 v14, v3
	v_mov_b32_e32 v15, v10
	;; [unrolled: 1-line block ×4, first 2 shown]
	v_pk_fma_f32 v[20:21], v[6:7], v[14:15], v[8:9] neg_lo:[1,0,0] neg_hi:[1,0,0]
	v_pk_fma_f32 v[8:9], v[6:7], v[14:15], v[8:9] op_sel_hi:[0,1,1]
	v_pk_add_f32 v[2:3], v[2:3], v[18:19] neg_lo:[0,1] neg_hi:[0,1]
	v_mov_b32_e32 v21, v9
	v_pk_fma_f32 v[2:3], v[6:7], v[14:15], v[2:3] op_sel_hi:[0,1,1]
	ds_write_b64 v69, v[20:21]
	ds_write_b64 v4, v[2:3] offset:16800
	ds_read_b64 v[2:3], v4 offset:16000
	ds_read_b64 v[6:7], v94 offset:8000
	global_load_dwordx2 v[10:11], v[0:1], off offset:2208
	s_waitcnt lgkmcnt(0)
	v_pk_add_f32 v[8:9], v[6:7], v[2:3] neg_lo:[0,1] neg_hi:[0,1]
	v_pk_add_f32 v[2:3], v[6:7], v[2:3]
	v_mov_b32_e32 v6, v8
	v_mov_b32_e32 v7, v3
	;; [unrolled: 1-line block ×4, first 2 shown]
	s_waitcnt vmcnt(3)
	v_pk_mul_f32 v[18:19], v[6:7], v[22:23] op_sel:[0,1]
	v_pk_fma_f32 v[6:7], v[6:7], v[22:23], v[14:15] op_sel:[0,1,0]
	v_mov_b32_e32 v14, v3
	v_mov_b32_e32 v15, v8
	;; [unrolled: 1-line block ×4, first 2 shown]
	v_pk_fma_f32 v[20:21], v[22:23], v[14:15], v[6:7] neg_lo:[1,0,0] neg_hi:[1,0,0]
	v_pk_fma_f32 v[6:7], v[22:23], v[14:15], v[6:7] op_sel_hi:[0,1,1]
	v_pk_add_f32 v[2:3], v[2:3], v[18:19] neg_lo:[0,1] neg_hi:[0,1]
	v_mov_b32_e32 v21, v7
	v_pk_fma_f32 v[2:3], v[22:23], v[14:15], v[2:3] op_sel_hi:[0,1,1]
	ds_write_b64 v94, v[20:21] offset:8000
	ds_write_b64 v4, v[2:3] offset:16000
	ds_read_b64 v[2:3], v4 offset:15200
	ds_read_b64 v[6:7], v94 offset:8800
	global_load_dwordx2 v[0:1], v[0:1], off offset:3008
	s_waitcnt lgkmcnt(0)
	v_pk_add_f32 v[8:9], v[6:7], v[2:3] neg_lo:[0,1] neg_hi:[0,1]
	v_pk_add_f32 v[2:3], v[6:7], v[2:3]
	v_mov_b32_e32 v6, v8
	v_mov_b32_e32 v7, v3
	v_mov_b32_e32 v14, v2
	v_mov_b32_e32 v15, v9
	s_waitcnt vmcnt(3)
	v_pk_mul_f32 v[18:19], v[6:7], v[16:17] op_sel:[0,1]
	v_pk_fma_f32 v[6:7], v[6:7], v[16:17], v[14:15] op_sel:[0,1,0]
	v_mov_b32_e32 v14, v3
	v_mov_b32_e32 v15, v8
	v_mov_b32_e32 v3, v19
	v_mov_b32_e32 v19, v9
	v_pk_fma_f32 v[20:21], v[16:17], v[14:15], v[6:7] neg_lo:[1,0,0] neg_hi:[1,0,0]
	v_pk_fma_f32 v[6:7], v[16:17], v[14:15], v[6:7] op_sel_hi:[0,1,1]
	v_pk_add_f32 v[2:3], v[2:3], v[18:19] neg_lo:[0,1] neg_hi:[0,1]
	v_mov_b32_e32 v21, v7
	v_pk_fma_f32 v[2:3], v[16:17], v[14:15], v[2:3] op_sel_hi:[0,1,1]
	ds_write_b64 v94, v[20:21] offset:8800
	ds_write_b64 v4, v[2:3] offset:15200
	ds_read_b64 v[2:3], v4 offset:14400
	ds_read_b64 v[6:7], v94 offset:9600
	s_waitcnt lgkmcnt(0)
	v_pk_add_f32 v[8:9], v[6:7], v[2:3] neg_lo:[0,1] neg_hi:[0,1]
	v_pk_add_f32 v[2:3], v[6:7], v[2:3]
	v_mov_b32_e32 v6, v8
	v_mov_b32_e32 v7, v3
	v_mov_b32_e32 v14, v2
	v_mov_b32_e32 v15, v9
	s_waitcnt vmcnt(2)
	v_pk_mul_f32 v[16:17], v[6:7], v[12:13] op_sel:[0,1]
	v_pk_fma_f32 v[6:7], v[6:7], v[12:13], v[14:15] op_sel:[0,1,0]
	v_mov_b32_e32 v14, v3
	v_mov_b32_e32 v15, v8
	v_mov_b32_e32 v3, v17
	v_mov_b32_e32 v17, v9
	v_pk_fma_f32 v[18:19], v[12:13], v[14:15], v[6:7] neg_lo:[1,0,0] neg_hi:[1,0,0]
	v_pk_fma_f32 v[6:7], v[12:13], v[14:15], v[6:7] op_sel_hi:[0,1,1]
	v_pk_add_f32 v[2:3], v[2:3], v[16:17] neg_lo:[0,1] neg_hi:[0,1]
	v_mov_b32_e32 v19, v7
	v_pk_fma_f32 v[2:3], v[12:13], v[14:15], v[2:3] op_sel_hi:[0,1,1]
	ds_write_b64 v94, v[18:19] offset:9600
	ds_write_b64 v4, v[2:3] offset:14400
	ds_read_b64 v[2:3], v4 offset:13600
	ds_read_b64 v[6:7], v94 offset:10400
	;; [unrolled: 23-line block ×3, first 2 shown]
	s_waitcnt lgkmcnt(0)
	v_pk_add_f32 v[8:9], v[6:7], v[2:3] neg_lo:[0,1] neg_hi:[0,1]
	v_pk_add_f32 v[2:3], v[6:7], v[2:3]
	v_mov_b32_e32 v6, v8
	v_mov_b32_e32 v7, v3
	;; [unrolled: 1-line block ×4, first 2 shown]
	s_waitcnt vmcnt(0)
	v_pk_mul_f32 v[12:13], v[6:7], v[0:1] op_sel:[0,1]
	v_pk_fma_f32 v[6:7], v[6:7], v[0:1], v[10:11] op_sel:[0,1,0]
	v_mov_b32_e32 v10, v3
	v_mov_b32_e32 v11, v8
	;; [unrolled: 1-line block ×4, first 2 shown]
	v_pk_fma_f32 v[14:15], v[0:1], v[10:11], v[6:7] neg_lo:[1,0,0] neg_hi:[1,0,0]
	v_pk_fma_f32 v[6:7], v[0:1], v[10:11], v[6:7] op_sel_hi:[0,1,1]
	v_pk_add_f32 v[2:3], v[2:3], v[12:13] neg_lo:[0,1] neg_hi:[0,1]
	v_mov_b32_e32 v15, v7
	v_pk_fma_f32 v[0:1], v[0:1], v[10:11], v[2:3] op_sel_hi:[0,1,1]
	ds_write_b64 v94, v[14:15] offset:11200
	ds_write_b64 v4, v[0:1] offset:12800
	s_waitcnt lgkmcnt(0)
	s_barrier
	s_barrier
	ds_read2_b64 v[4:7], v98 offset0:88 offset1:188
	ds_read2_b64 v[8:11], v97 offset0:48 offset1:148
	;; [unrolled: 1-line block ×8, first 2 shown]
	s_waitcnt lgkmcnt(6)
	v_pk_add_f32 v[16:17], v[10:11], v[6:7] neg_lo:[0,1] neg_hi:[0,1]
	s_waitcnt lgkmcnt(4)
	v_pk_add_f32 v[18:19], v[14:15], v[22:23] neg_lo:[0,1] neg_hi:[0,1]
	v_pk_add_f32 v[80:81], v[4:5], v[20:21] neg_lo:[0,1] neg_hi:[0,1]
	v_pk_add_f32 v[36:37], v[16:17], v[18:19]
	ds_read2_b64 v[16:19], v102 offset0:144 offset1:244
	s_waitcnt lgkmcnt(3)
	v_pk_add_f32 v[38:39], v[24:25], v[0:1] neg_lo:[0,1] neg_hi:[0,1]
	s_waitcnt lgkmcnt(1)
	v_pk_add_f32 v[40:41], v[28:29], v[32:33] neg_lo:[0,1] neg_hi:[0,1]
	v_pk_add_f32 v[112:113], v[24:25], v[28:29] neg_lo:[0,1] neg_hi:[0,1]
	v_pk_add_f32 v[38:39], v[38:39], v[40:41]
	v_pk_add_f32 v[40:41], v[0:1], v[32:33]
	v_pk_mul_f32 v[42:43], v[112:113], s[10:11] op_sel_hi:[1,0]
	s_waitcnt lgkmcnt(0)
	v_pk_fma_f32 v[40:41], v[40:41], 0.5, v[16:17] op_sel_hi:[1,0,1] neg_lo:[1,0,0] neg_hi:[1,0,0]
	v_pk_add_f32 v[84:85], v[8:9], v[12:13] neg_lo:[0,1] neg_hi:[0,1]
	v_pk_add_f32 v[82:83], v[40:41], v[42:43] op_sel:[0,1] op_sel_hi:[1,0] neg_lo:[0,1] neg_hi:[0,1]
	v_pk_add_f32 v[88:89], v[40:41], v[42:43] op_sel:[0,1] op_sel_hi:[1,0]
	ds_read2_b64 v[44:47], v101 offset0:32 offset1:132
	ds_read2_b64 v[40:43], v100 offset0:40 offset1:140
	;; [unrolled: 1-line block ×4, first 2 shown]
	v_pk_mul_f32 v[78:79], v[84:85], s[14:15] op_sel_hi:[1,0]
	v_pk_mul_f32 v[86:87], v[80:81], s[14:15] op_sel_hi:[1,0]
	s_waitcnt lgkmcnt(2)
	v_pk_add_f32 v[114:115], v[46:47], v[42:43] neg_lo:[0,1] neg_hi:[0,1]
	v_pk_add_f32 v[118:119], v[0:1], v[32:33] neg_lo:[0,1] neg_hi:[0,1]
	s_waitcnt lgkmcnt(0)
	v_pk_add_f32 v[92:93], v[54:55], v[50:51] neg_lo:[0,1] neg_hi:[0,1]
	v_pk_mul_f32 v[90:91], v[114:115], s[14:15] op_sel_hi:[1,0]
	v_pk_mul_f32 v[116:117], v[92:93], s[14:15] op_sel_hi:[1,0]
	s_mov_b32 s15, s4
	v_pk_mul_f32 v[108:109], v[118:119], s[14:15] op_sel_hi:[1,0]
	v_pk_mul_f32 v[114:115], v[114:115], s[10:11] op_sel_hi:[1,0]
	v_pk_add_f32 v[88:89], v[88:89], v[108:109] op_sel:[0,1] op_sel_hi:[1,0] neg_lo:[0,1] neg_hi:[0,1]
	v_pk_add_f32 v[82:83], v[82:83], v[108:109] op_sel:[0,1] op_sel_hi:[1,0]
	v_mov_b32_e32 v109, v89
	v_mov_b32_e32 v108, v82
	v_pk_fma_f32 v[120:121], v[38:39], s[12:13], v[108:109] op_sel_hi:[1,0,1]
	ds_read2_b64 v[108:111], v94 offset1:100
	v_pk_mul_f32 v[122:123], v[120:121], s[10:11] op_sel_hi:[1,0]
	v_mov_b32_e32 v89, v83
	v_pk_fma_f32 v[124:125], v[120:121], s[12:13], v[122:123] op_sel:[0,0,1] op_sel_hi:[1,0,0]
	v_pk_fma_f32 v[120:121], v[120:121], s[12:13], v[122:123] op_sel:[0,0,1] op_sel_hi:[1,0,0] neg_lo:[0,0,1] neg_hi:[0,0,1]
	v_pk_add_f32 v[122:123], v[10:11], v[14:15] neg_lo:[0,1] neg_hi:[0,1]
	v_mov_b32_e32 v125, v121
	v_pk_add_f32 v[120:121], v[6:7], v[22:23]
	v_pk_mul_f32 v[126:127], v[122:123], s[10:11] op_sel_hi:[1,0]
	s_waitcnt lgkmcnt(0)
	v_pk_fma_f32 v[120:121], v[120:121], 0.5, v[110:111] op_sel_hi:[1,0,1] neg_lo:[1,0,0] neg_hi:[1,0,0]
	v_pk_fma_f32 v[38:39], v[38:39], s[12:13], v[88:89] op_sel_hi:[1,0,1]
	v_pk_add_f32 v[128:129], v[120:121], v[126:127] op_sel:[0,1] op_sel_hi:[1,0] neg_lo:[0,1] neg_hi:[0,1]
	v_pk_add_f32 v[120:121], v[120:121], v[126:127] op_sel:[0,1] op_sel_hi:[1,0]
	v_pk_add_f32 v[126:127], v[6:7], v[22:23] neg_lo:[0,1] neg_hi:[0,1]
	v_pk_mul_f32 v[82:83], v[38:39], s[12:13] op_sel_hi:[1,0]
	v_pk_mul_f32 v[130:131], v[126:127], s[14:15] op_sel_hi:[1,0]
	v_pk_fma_f32 v[82:83], v[38:39], s[16:17], v[82:83] op_sel:[0,0,1] op_sel_hi:[1,1,0] neg_lo:[0,0,1] neg_hi:[0,0,1]
	v_pk_add_f32 v[120:121], v[120:121], v[130:131] op_sel:[0,1] op_sel_hi:[1,0] neg_lo:[0,1] neg_hi:[0,1]
	v_pk_add_f32 v[128:129], v[128:129], v[130:131] op_sel:[0,1] op_sel_hi:[1,0]
	v_mov_b32_e32 v39, v121
	v_mov_b32_e32 v38, v128
	;; [unrolled: 1-line block ×3, first 2 shown]
	v_pk_fma_f32 v[128:129], v[36:37], s[12:13], v[38:39] op_sel_hi:[1,0,1]
	v_pk_fma_f32 v[88:89], v[36:37], s[12:13], v[120:121] op_sel_hi:[1,0,1]
	v_add_u32_e32 v36, 0x400, v94
	ds_read2_b64 v[36:39], v36 offset0:72 offset1:172
	v_pk_add_f32 v[120:121], v[128:129], v[124:125]
	v_pk_add_f32 v[130:131], v[88:89], v[82:83] op_sel:[0,1] op_sel_hi:[1,0]
	s_waitcnt lgkmcnt(0)
	s_barrier
	ds_write2_b64 v132, v[120:121], v[130:131] offset1:1
	v_pk_add_f32 v[120:121], v[46:47], v[54:55] neg_lo:[0,1] neg_hi:[0,1]
	v_pk_add_f32 v[130:131], v[42:43], v[50:51] neg_lo:[0,1] neg_hi:[0,1]
	v_pk_mul_f32 v[126:127], v[126:127], s[10:11] op_sel_hi:[1,0]
	v_pk_add_f32 v[120:121], v[120:121], v[130:131]
	v_pk_add_f32 v[130:131], v[54:55], v[50:51]
	v_pk_mul_f32 v[122:123], v[122:123], s[14:15] op_sel_hi:[1,0]
	v_pk_fma_f32 v[130:131], v[130:131], 0.5, v[38:39] op_sel_hi:[1,0,1] neg_lo:[1,0,0] neg_hi:[1,0,0]
	v_pk_mul_f32 v[118:119], v[118:119], s[10:11] op_sel_hi:[1,0]
	v_pk_add_f32 v[132:133], v[130:131], v[114:115] op_sel:[0,1] op_sel_hi:[1,0]
	v_pk_add_f32 v[114:115], v[130:131], v[114:115] op_sel:[0,1] op_sel_hi:[1,0] neg_lo:[0,1] neg_hi:[0,1]
	v_pk_add_f32 v[130:131], v[116:117], v[132:133] op_sel:[1,0] op_sel_hi:[0,1]
	v_pk_add_f32 v[114:115], v[114:115], v[116:117] op_sel:[0,1] op_sel_hi:[1,0] neg_lo:[0,1] neg_hi:[0,1]
	v_pk_add_f32 v[116:117], v[6:7], v[10:11] neg_lo:[0,1] neg_hi:[0,1]
	v_pk_add_f32 v[132:133], v[22:23], v[14:15] neg_lo:[0,1] neg_hi:[0,1]
	v_pk_mul_f32 v[112:113], v[112:113], s[14:15] op_sel_hi:[1,0]
	v_pk_add_f32 v[116:117], v[116:117], v[132:133]
	v_pk_add_f32 v[132:133], v[10:11], v[14:15]
	;; [unrolled: 1-line block ×3, first 2 shown]
	v_pk_fma_f32 v[132:133], v[132:133], 0.5, v[110:111] op_sel_hi:[1,0,1] neg_lo:[1,0,0] neg_hi:[1,0,0]
	v_pk_add_f32 v[6:7], v[6:7], v[10:11]
	v_pk_add_f32 v[134:135], v[132:133], v[126:127] op_sel:[0,1] op_sel_hi:[1,0]
	v_pk_add_f32 v[126:127], v[132:133], v[126:127] op_sel:[0,1] op_sel_hi:[1,0] neg_lo:[0,1] neg_hi:[0,1]
	v_pk_add_f32 v[132:133], v[0:1], v[24:25] neg_lo:[0,1] neg_hi:[0,1]
	v_pk_add_f32 v[126:127], v[126:127], v[122:123] op_sel:[0,1] op_sel_hi:[1,0] neg_lo:[0,1] neg_hi:[0,1]
	v_pk_add_f32 v[122:123], v[134:135], v[122:123] op_sel:[0,1] op_sel_hi:[1,0]
	v_pk_add_f32 v[134:135], v[32:33], v[28:29] neg_lo:[0,1] neg_hi:[0,1]
	v_pk_add_f32 v[0:1], v[16:17], v[0:1]
	v_pk_add_f32 v[132:133], v[132:133], v[134:135]
	;; [unrolled: 1-line block ×4, first 2 shown]
	v_pk_fma_f32 v[134:135], v[134:135], 0.5, v[16:17] op_sel_hi:[1,0,1] neg_lo:[1,0,0] neg_hi:[1,0,0]
	v_pk_add_f32 v[6:7], v[6:7], v[14:15]
	v_pk_add_f32 v[136:137], v[134:135], v[118:119] op_sel:[0,1] op_sel_hi:[1,0]
	v_pk_add_f32 v[118:119], v[134:135], v[118:119] op_sel:[0,1] op_sel_hi:[1,0] neg_lo:[0,1] neg_hi:[0,1]
	v_pk_add_f32 v[134:135], v[112:113], v[136:137] op_sel:[1,0] op_sel_hi:[0,1]
	v_pk_add_f32 v[112:113], v[118:119], v[112:113] op_sel:[0,1] op_sel_hi:[1,0] neg_lo:[0,1] neg_hi:[0,1]
	v_pk_fma_f32 v[118:119], v[120:121], s[12:13], v[114:115] op_sel_hi:[1,0,1]
	v_mov_b32_e32 v115, v131
	v_pk_fma_f32 v[114:115], v[120:121], s[12:13], v[114:115] op_sel_hi:[1,0,1]
	v_pk_fma_f32 v[138:139], v[132:133], s[12:13], v[134:135] op_sel_hi:[1,0,1]
	v_pk_mul_f32 v[136:137], v[114:115], s[4:5] op_sel_hi:[1,0]
	s_mov_b32 s5, s14
	v_pk_mul_f32 v[138:139], v[138:139], s[4:5] op_sel_hi:[0,1]
	v_pk_fma_f32 v[140:141], v[132:133], s[12:13], v[112:113] op_sel_hi:[1,0,1]
	v_pk_add_f32 v[0:1], v[0:1], v[28:29]
	v_pk_fma_f32 v[142:143], v[140:141], s[14:15], v[138:139] op_sel:[1,0,0]
	v_pk_fma_f32 v[138:139], v[140:141], s[14:15], v[138:139] op_sel:[1,0,0] neg_lo:[0,0,1] neg_hi:[0,0,1]
	v_mov_b32_e32 v10, v122
	v_mov_b32_e32 v11, v127
	;; [unrolled: 1-line block ×3, first 2 shown]
	v_pk_add_f32 v[6:7], v[6:7], v[22:23]
	v_pk_add_f32 v[0:1], v[0:1], v[32:33]
	v_pk_fma_f32 v[10:11], v[116:117], s[12:13], v[10:11] op_sel_hi:[1,0,1]
	v_add_u32_e32 v22, 0x1f40, v144
	v_pk_add_f32 v[14:15], v[6:7], v[0:1]
	v_pk_add_f32 v[16:17], v[10:11], v[142:143]
	v_mov_b32_e32 v113, v135
	ds_write2_b64 v22, v[14:15], v[16:17] offset1:1
	v_pk_fma_f32 v[16:17], v[132:133], s[12:13], v[112:113] op_sel_hi:[1,0,1]
	v_mov_b32_e32 v127, v123
	v_pk_mul_f32 v[22:23], v[16:17], s[4:5] op_sel_hi:[1,0]
	v_pk_fma_f32 v[14:15], v[116:117], s[12:13], v[126:127] op_sel_hi:[1,0,1]
	v_pk_fma_f32 v[16:17], v[16:17], s[18:19], v[22:23] op_sel:[0,0,1] op_sel_hi:[1,1,0] neg_lo:[0,0,1] neg_hi:[0,0,1]
	v_pk_add_f32 v[0:1], v[6:7], v[0:1] neg_lo:[0,1] neg_hi:[0,1]
	v_pk_add_f32 v[6:7], v[14:15], v[16:17] op_sel:[1,0] op_sel_hi:[0,1]
	v_mov_b32_e32 v22, v7
	v_mov_b32_e32 v23, v6
	v_add_u32_e32 v6, 0x1f60, v144
	ds_write2_b64 v6, v[22:23], v[0:1] offset1:1
	v_pk_add_f32 v[0:1], v[10:11], v[142:143] neg_lo:[0,1] neg_hi:[0,1]
	v_pk_add_f32 v[6:7], v[128:129], v[124:125] neg_lo:[0,1] neg_hi:[0,1]
	v_add_u32_e32 v10, 0x1f70, v144
	ds_write2_b64 v10, v[0:1], v[6:7] offset1:1
	v_pk_add_f32 v[0:1], v[108:109], v[4:5]
	v_pk_add_f32 v[6:7], v[8:9], v[12:13]
	;; [unrolled: 1-line block ×3, first 2 shown]
	v_pk_add_f32 v[10:11], v[4:5], v[8:9] neg_lo:[0,1] neg_hi:[0,1]
	v_pk_add_f32 v[8:9], v[8:9], v[4:5] neg_lo:[0,1] neg_hi:[0,1]
	v_pk_add_f32 v[0:1], v[0:1], v[12:13]
	v_pk_add_f32 v[22:23], v[20:21], v[12:13] neg_lo:[0,1] neg_hi:[0,1]
	v_pk_add_f32 v[12:13], v[12:13], v[20:21] neg_lo:[0,1] neg_hi:[0,1]
	v_pk_add_f32 v[4:5], v[4:5], v[20:21]
	v_pk_add_f32 v[0:1], v[0:1], v[20:21]
	;; [unrolled: 1-line block ×3, first 2 shown]
	v_pk_add_f32 v[12:13], v[54:55], v[46:47] neg_lo:[0,1] neg_hi:[0,1]
	v_pk_add_f32 v[20:21], v[50:51], v[42:43] neg_lo:[0,1] neg_hi:[0,1]
	v_pk_mul_f32 v[24:25], v[92:93], s[10:11] op_sel_hi:[1,0]
	v_pk_add_f32 v[12:13], v[12:13], v[20:21]
	v_pk_add_f32 v[20:21], v[46:47], v[42:43]
	v_pk_fma_f32 v[4:5], v[4:5], 0.5, v[108:109] op_sel_hi:[1,0,1] neg_lo:[1,0,0] neg_hi:[1,0,0]
	v_pk_fma_f32 v[20:21], v[20:21], 0.5, v[38:39] op_sel_hi:[1,0,1] neg_lo:[1,0,0] neg_hi:[1,0,0]
	;; [unrolled: 1-line block ×3, first 2 shown]
	v_pk_add_f32 v[28:29], v[20:21], v[24:25] op_sel:[0,1] op_sel_hi:[1,0] neg_lo:[0,1] neg_hi:[0,1]
	v_pk_add_f32 v[20:21], v[20:21], v[24:25] op_sel:[0,1] op_sel_hi:[1,0]
	v_pk_add_f32 v[24:25], v[28:29], v[90:91] op_sel:[0,1] op_sel_hi:[1,0]
	v_pk_add_f32 v[20:21], v[20:21], v[90:91] op_sel:[0,1] op_sel_hi:[1,0] neg_lo:[0,1] neg_hi:[0,1]
	v_mov_b32_e32 v28, v24
	v_mov_b32_e32 v29, v21
	v_pk_fma_f32 v[28:29], v[12:13], s[12:13], v[28:29] op_sel_hi:[1,0,1]
	v_mov_b32_e32 v21, v25
	v_pk_mul_f32 v[32:33], v[28:29], s[10:11] op_sel_hi:[1,0]
	v_pk_fma_f32 v[12:13], v[12:13], s[12:13], v[20:21] op_sel_hi:[1,0,1]
	v_pk_fma_f32 v[90:91], v[28:29], s[12:13], v[32:33] op_sel:[0,0,1] op_sel_hi:[1,0,0]
	v_pk_fma_f32 v[28:29], v[28:29], s[12:13], v[32:33] op_sel:[0,0,1] op_sel_hi:[1,0,0] neg_lo:[0,0,1] neg_hi:[0,0,1]
	v_pk_mul_f32 v[20:21], v[12:13], s[12:13] op_sel_hi:[1,0]
	v_mov_b32_e32 v91, v29
	v_pk_mul_f32 v[28:29], v[84:85], s[10:11] op_sel_hi:[1,0]
	v_pk_fma_f32 v[12:13], v[12:13], s[16:17], v[20:21] op_sel:[0,0,1] op_sel_hi:[1,1,0] neg_lo:[0,0,1] neg_hi:[0,0,1]
	v_pk_add_f32 v[32:33], v[4:5], v[28:29] op_sel:[0,1] op_sel_hi:[1,0] neg_lo:[0,1] neg_hi:[0,1]
	v_pk_add_f32 v[4:5], v[4:5], v[28:29] op_sel:[0,1] op_sel_hi:[1,0]
	v_pk_add_f32 v[28:29], v[32:33], v[86:87] op_sel:[0,1] op_sel_hi:[1,0]
	v_pk_add_f32 v[4:5], v[4:5], v[86:87] op_sel:[0,1] op_sel_hi:[1,0] neg_lo:[0,1] neg_hi:[0,1]
	v_mov_b32_e32 v20, v28
	v_mov_b32_e32 v21, v5
	;; [unrolled: 1-line block ×3, first 2 shown]
	v_pk_fma_f32 v[20:21], v[8:9], s[12:13], v[20:21] op_sel_hi:[1,0,1]
	v_pk_fma_f32 v[4:5], v[8:9], s[12:13], v[4:5] op_sel_hi:[1,0,1]
	v_pk_add_f32 v[8:9], v[20:21], v[90:91]
	v_pk_add_f32 v[24:25], v[4:5], v[12:13] op_sel:[0,1] op_sel_hi:[1,0]
	ds_write2_b64 v144, v[8:9], v[24:25] offset0:2 offset1:3
	v_pk_add_f32 v[8:9], v[10:11], v[22:23]
	v_pk_mul_f32 v[10:11], v[80:81], s[10:11] op_sel_hi:[1,0]
	v_add_u16_e32 v141, 0x64, v58
	v_pk_add_f32 v[22:23], v[6:7], v[10:11] op_sel:[0,1] op_sel_hi:[1,0]
	v_pk_add_f32 v[6:7], v[6:7], v[10:11] op_sel:[0,1] op_sel_hi:[1,0] neg_lo:[0,1] neg_hi:[0,1]
	v_pk_add_f32 v[10:11], v[22:23], v[78:79] op_sel:[0,1] op_sel_hi:[1,0]
	v_pk_fma_f32 v[22:23], v[120:121], s[12:13], v[130:131] op_sel_hi:[1,0,1]
	v_pk_add_f32 v[6:7], v[6:7], v[78:79] op_sel:[0,1] op_sel_hi:[1,0] neg_lo:[0,1] neg_hi:[0,1]
	v_pk_mul_f32 v[22:23], v[22:23], s[4:5] op_sel_hi:[0,1]
	v_pk_fma_f32 v[24:25], v[118:119], s[14:15], v[22:23] op_sel:[1,0,0]
	v_pk_fma_f32 v[22:23], v[118:119], s[14:15], v[22:23] op_sel:[1,0,0] neg_lo:[0,0,1] neg_hi:[0,0,1]
	v_mov_b32_e32 v28, v10
	v_mov_b32_e32 v25, v23
	v_pk_add_f32 v[22:23], v[38:39], v[46:47]
	v_mov_b32_e32 v29, v7
	v_pk_add_f32 v[22:23], v[22:23], v[54:55]
	v_mov_b32_e32 v7, v11
	v_pk_add_f32 v[22:23], v[22:23], v[50:51]
	v_pk_fma_f32 v[28:29], v[8:9], s[12:13], v[28:29] op_sel_hi:[1,0,1]
	v_pk_fma_f32 v[6:7], v[8:9], s[12:13], v[6:7] op_sel_hi:[1,0,1]
	v_pk_fma_f32 v[8:9], v[114:115], s[18:19], v[136:137] op_sel:[0,0,1] op_sel_hi:[1,1,0] neg_lo:[0,0,1] neg_hi:[0,0,1]
	v_pk_add_f32 v[22:23], v[22:23], v[42:43]
	v_pk_add_f32 v[10:11], v[6:7], v[8:9] op_sel:[1,0] op_sel_hi:[0,1]
	v_pk_add_f32 v[32:33], v[0:1], v[22:23]
	v_pk_add_f32 v[0:1], v[0:1], v[22:23] neg_lo:[0,1] neg_hi:[0,1]
	v_mov_b32_e32 v22, v11
	v_mov_b32_e32 v23, v10
	ds_write2_b64 v144, v[22:23], v[0:1] offset0:4 offset1:5
	v_pk_add_f32 v[0:1], v[28:29], v[24:25] neg_lo:[0,1] neg_hi:[0,1]
	v_pk_add_f32 v[10:11], v[20:21], v[90:91] neg_lo:[0,1] neg_hi:[0,1]
	ds_write2_b64 v144, v[0:1], v[10:11] offset0:6 offset1:7
	v_pk_add_f32 v[0:1], v[4:5], v[12:13] op_sel:[0,1] op_sel_hi:[1,0] neg_lo:[0,1] neg_hi:[0,1]
	v_pk_add_f32 v[4:5], v[6:7], v[8:9] op_sel:[1,0] op_sel_hi:[0,1] neg_lo:[0,1] neg_hi:[0,1]
	v_mov_b32_e32 v6, v5
	v_mov_b32_e32 v7, v4
	v_pk_add_f32 v[4:5], v[14:15], v[16:17] op_sel:[1,0] op_sel_hi:[0,1] neg_lo:[0,1] neg_hi:[0,1]
	ds_write2_b64 v144, v[0:1], v[6:7] offset0:8 offset1:9
	v_pk_add_f32 v[0:1], v[88:89], v[82:83] op_sel:[0,1] op_sel_hi:[1,0] neg_lo:[0,1] neg_hi:[0,1]
	v_mov_b32_e32 v6, v5
	v_mov_b32_e32 v7, v4
	v_add_u32_e32 v4, 0x1f80, v144
	ds_write2_b64 v4, v[0:1], v[6:7] offset1:1
	v_pk_add_f32 v[0:1], v[36:37], v[44:45]
	v_pk_add_f32 v[38:39], v[28:29], v[24:25]
	;; [unrolled: 1-line block ×5, first 2 shown]
	ds_write2_b64 v144, v[32:33], v[38:39] offset1:1
	v_pk_add_f32 v[10:11], v[52:53], v[44:45] neg_lo:[0,1] neg_hi:[0,1]
	v_pk_add_f32 v[12:13], v[44:45], v[40:41] neg_lo:[0,1] neg_hi:[0,1]
	v_pk_add_f32 v[14:15], v[44:45], v[40:41]
	v_pk_add_f32 v[16:17], v[40:41], v[48:49] neg_lo:[0,1] neg_hi:[0,1]
	v_pk_add_f32 v[20:21], v[48:49], v[40:41] neg_lo:[0,1] neg_hi:[0,1]
	v_pk_add_f32 v[0:1], v[0:1], v[40:41]
	v_pk_add_f32 v[28:29], v[2:3], v[34:35]
	v_pk_add_f32 v[32:33], v[26:27], v[2:3] neg_lo:[0,1] neg_hi:[0,1]
	v_pk_add_f32 v[22:23], v[22:23], v[26:27]
	v_pk_add_f32 v[38:39], v[26:27], v[30:31] neg_lo:[0,1] neg_hi:[0,1]
	v_pk_add_f32 v[40:41], v[30:31], v[34:35] neg_lo:[0,1] neg_hi:[0,1]
	;; [unrolled: 1-line block ×3, first 2 shown]
	v_pk_add_f32 v[22:23], v[22:23], v[30:31]
	v_pk_add_f32 v[10:11], v[10:11], v[20:21]
	;; [unrolled: 1-line block ×3, first 2 shown]
	v_pk_fma_f32 v[28:29], v[28:29], 0.5, v[18:19] op_sel_hi:[1,0,1] neg_lo:[1,0,0] neg_hi:[1,0,0]
	v_pk_mul_f32 v[32:33], v[38:39], s[10:11] op_sel_hi:[1,0]
	v_pk_add_f32 v[2:3], v[2:3], v[26:27] neg_lo:[0,1] neg_hi:[0,1]
	v_pk_add_f32 v[26:27], v[26:27], v[30:31]
	v_pk_add_f32 v[30:31], v[34:35], v[30:31] neg_lo:[0,1] neg_hi:[0,1]
	v_pk_add_f32 v[22:23], v[22:23], v[34:35]
	v_pk_add_f32 v[34:35], v[28:29], v[32:33] op_sel:[0,1] op_sel_hi:[1,0] neg_lo:[0,1] neg_hi:[0,1]
	v_pk_add_f32 v[28:29], v[28:29], v[32:33] op_sel:[0,1] op_sel_hi:[1,0]
	v_pk_mul_f32 v[32:33], v[24:25], s[14:15] op_sel_hi:[1,0]
	v_pk_add_f32 v[4:5], v[52:53], v[48:49]
	v_pk_add_f32 v[28:29], v[28:29], v[32:33] op_sel:[0,1] op_sel_hi:[1,0] neg_lo:[0,1] neg_hi:[0,1]
	v_pk_add_f32 v[32:33], v[34:35], v[32:33] op_sel:[0,1] op_sel_hi:[1,0]
	v_mov_b32_e32 v35, v29
	v_mov_b32_e32 v34, v32
	v_pk_fma_f32 v[34:35], v[20:21], s[12:13], v[34:35] op_sel_hi:[1,0,1]
	v_pk_fma_f32 v[4:5], v[4:5], 0.5, v[36:37] op_sel_hi:[1,0,1] neg_lo:[1,0,0] neg_hi:[1,0,0]
	v_pk_fma_f32 v[14:15], v[14:15], 0.5, v[36:37] op_sel_hi:[1,0,1] neg_lo:[1,0,0] neg_hi:[1,0,0]
	v_pk_mul_f32 v[36:37], v[34:35], s[10:11] op_sel_hi:[1,0]
	v_pk_add_f32 v[6:7], v[52:53], v[48:49] neg_lo:[0,1] neg_hi:[0,1]
	v_pk_fma_f32 v[40:41], v[34:35], s[12:13], v[36:37] op_sel:[0,0,1] op_sel_hi:[1,0,0]
	v_pk_fma_f32 v[34:35], v[34:35], s[12:13], v[36:37] op_sel:[0,0,1] op_sel_hi:[1,0,0] neg_lo:[0,0,1] neg_hi:[0,0,1]
	v_mov_b32_e32 v29, v33
	v_mov_b32_e32 v41, v35
	v_pk_mul_f32 v[34:35], v[6:7], s[10:11] op_sel_hi:[1,0]
	v_pk_fma_f32 v[20:21], v[20:21], s[12:13], v[28:29] op_sel_hi:[1,0,1]
	v_pk_add_f32 v[36:37], v[14:15], v[34:35] op_sel:[0,1] op_sel_hi:[1,0] neg_lo:[0,1] neg_hi:[0,1]
	v_pk_add_f32 v[14:15], v[14:15], v[34:35] op_sel:[0,1] op_sel_hi:[1,0]
	v_pk_mul_f32 v[34:35], v[12:13], s[14:15] op_sel_hi:[1,0]
	v_pk_mul_f32 v[28:29], v[20:21], s[12:13] op_sel_hi:[1,0]
	v_pk_add_f32 v[14:15], v[14:15], v[34:35] op_sel:[0,1] op_sel_hi:[1,0] neg_lo:[0,1] neg_hi:[0,1]
	v_pk_add_f32 v[34:35], v[36:37], v[34:35] op_sel:[0,1] op_sel_hi:[1,0]
	v_pk_fma_f32 v[20:21], v[20:21], s[16:17], v[28:29] op_sel:[0,0,1] op_sel_hi:[1,1,0] neg_lo:[0,0,1] neg_hi:[0,0,1]
	v_mov_b32_e32 v28, v34
	v_mov_b32_e32 v29, v15
	;; [unrolled: 1-line block ×3, first 2 shown]
	v_pk_fma_f32 v[28:29], v[10:11], s[12:13], v[28:29] op_sel_hi:[1,0,1]
	v_pk_fma_f32 v[10:11], v[10:11], s[12:13], v[14:15] op_sel_hi:[1,0,1]
	v_mul_u32_u24_e32 v14, 10, v62
	v_pk_add_f32 v[8:9], v[44:45], v[52:53] neg_lo:[0,1] neg_hi:[0,1]
	v_lshl_add_u32 v34, v14, 3, 0
	v_pk_add_f32 v[14:15], v[28:29], v[40:41]
	v_pk_add_f32 v[32:33], v[10:11], v[20:21] op_sel:[0,1] op_sel_hi:[1,0]
	v_pk_mul_f32 v[12:13], v[12:13], s[10:11] op_sel_hi:[1,0]
	ds_write2_b64 v34, v[14:15], v[32:33] offset0:2 offset1:3
	v_pk_fma_f32 v[14:15], v[26:27], 0.5, v[18:19] op_sel_hi:[1,0,1] neg_lo:[1,0,0] neg_hi:[1,0,0]
	v_pk_add_f32 v[8:9], v[8:9], v[16:17]
	v_pk_add_f32 v[16:17], v[4:5], v[12:13] op_sel:[0,1] op_sel_hi:[1,0]
	v_pk_add_f32 v[4:5], v[4:5], v[12:13] op_sel:[0,1] op_sel_hi:[1,0] neg_lo:[0,1] neg_hi:[0,1]
	v_pk_mul_f32 v[6:7], v[6:7], s[14:15] op_sel_hi:[1,0]
	v_pk_mul_f32 v[12:13], v[24:25], s[10:11] op_sel_hi:[1,0]
	v_pk_add_f32 v[4:5], v[4:5], v[6:7] op_sel:[0,1] op_sel_hi:[1,0] neg_lo:[0,1] neg_hi:[0,1]
	v_pk_add_f32 v[6:7], v[16:17], v[6:7] op_sel:[0,1] op_sel_hi:[1,0]
	v_pk_add_f32 v[16:17], v[14:15], v[12:13] op_sel:[0,1] op_sel_hi:[1,0]
	v_pk_add_f32 v[12:13], v[14:15], v[12:13] op_sel:[0,1] op_sel_hi:[1,0] neg_lo:[0,1] neg_hi:[0,1]
	v_pk_mul_f32 v[14:15], v[38:39], s[14:15] op_sel_hi:[1,0]
	v_pk_add_f32 v[2:3], v[2:3], v[30:31]
	v_pk_add_f32 v[16:17], v[14:15], v[16:17] op_sel:[1,0] op_sel_hi:[0,1]
	v_pk_add_f32 v[12:13], v[12:13], v[14:15] op_sel:[0,1] op_sel_hi:[1,0] neg_lo:[0,1] neg_hi:[0,1]
	v_pk_fma_f32 v[14:15], v[2:3], s[12:13], v[16:17] op_sel_hi:[1,0,1]
	v_pk_fma_f32 v[18:19], v[2:3], s[12:13], v[12:13] op_sel_hi:[1,0,1]
	v_pk_mul_f32 v[14:15], v[14:15], s[4:5] op_sel_hi:[0,1]
	v_mov_b32_e32 v13, v17
	v_pk_fma_f32 v[24:25], v[18:19], s[14:15], v[14:15] op_sel:[1,0,0]
	v_pk_fma_f32 v[14:15], v[18:19], s[14:15], v[14:15] op_sel:[1,0,0] neg_lo:[0,0,1] neg_hi:[0,0,1]
	v_pk_fma_f32 v[2:3], v[2:3], s[12:13], v[12:13] op_sel_hi:[1,0,1]
	v_mov_b32_e32 v25, v15
	v_mov_b32_e32 v14, v6
	;; [unrolled: 1-line block ×4, first 2 shown]
	v_pk_mul_f32 v[6:7], v[2:3], s[4:5] op_sel_hi:[1,0]
	v_pk_fma_f32 v[4:5], v[8:9], s[12:13], v[4:5] op_sel_hi:[1,0,1]
	v_pk_fma_f32 v[2:3], v[2:3], s[18:19], v[6:7] op_sel:[0,0,1] op_sel_hi:[1,1,0] neg_lo:[0,0,1] neg_hi:[0,0,1]
	v_pk_fma_f32 v[14:15], v[8:9], s[12:13], v[14:15] op_sel_hi:[1,0,1]
	v_pk_add_f32 v[6:7], v[4:5], v[2:3] op_sel:[1,0] op_sel_hi:[0,1]
	v_pk_add_f32 v[18:19], v[0:1], v[22:23]
	v_pk_add_f32 v[0:1], v[0:1], v[22:23] neg_lo:[0,1] neg_hi:[0,1]
	v_mov_b32_e32 v8, v7
	v_mov_b32_e32 v9, v6
	ds_write2_b64 v34, v[8:9], v[0:1] offset0:4 offset1:5
	v_pk_add_f32 v[0:1], v[14:15], v[24:25] neg_lo:[0,1] neg_hi:[0,1]
	v_pk_add_f32 v[6:7], v[28:29], v[40:41] neg_lo:[0,1] neg_hi:[0,1]
	v_pk_add_f32 v[2:3], v[4:5], v[2:3] op_sel:[1,0] op_sel_hi:[0,1] neg_lo:[0,1] neg_hi:[0,1]
	ds_write2_b64 v34, v[0:1], v[6:7] offset0:6 offset1:7
	v_pk_add_f32 v[0:1], v[10:11], v[20:21] op_sel:[0,1] op_sel_hi:[1,0] neg_lo:[0,1] neg_hi:[0,1]
	v_mov_b32_e32 v4, v3
	v_mov_b32_e32 v5, v2
	s_mov_b32 s5, 0xcccd
	ds_write2_b64 v34, v[0:1], v[4:5] offset0:8 offset1:9
	v_mul_u32_u24_sdwa v4, v74, s5 dst_sel:DWORD dst_unused:UNUSED_PAD src0_sel:WORD_0 src1_sel:DWORD
	v_lshrrev_b32_e32 v23, 19, v4
	v_mul_lo_u16_e32 v4, 10, v23
	v_mul_u32_u24_sdwa v8, v72, s5 dst_sel:DWORD dst_unused:UNUSED_PAD src0_sel:WORD_0 src1_sel:DWORD
	v_sub_u16_e32 v22, v74, v4
	v_lshrrev_b32_e32 v74, 19, v8
	v_mul_u32_u24_sdwa v0, v76, s5 dst_sel:DWORD dst_unused:UNUSED_PAD src0_sel:WORD_0 src1_sel:DWORD
	v_mul_lo_u16_e32 v8, 10, v74
	v_lshrrev_b32_e32 v20, 19, v0
	v_sub_u16_e32 v72, v72, v8
	v_pk_add_f32 v[26:27], v[14:15], v[24:25]
	v_mul_lo_u16_e32 v0, 10, v20
	v_lshlrev_b32_e32 v8, 4, v72
	ds_write2_b64 v34, v[18:19], v[26:27] offset1:1
	s_waitcnt lgkmcnt(0)
	s_barrier
	v_sub_u16_e32 v21, v76, v0
	global_load_dwordx4 v[24:27], v8, s[8:9]
	v_mul_u32_u24_sdwa v8, v68, s5 dst_sel:DWORD dst_unused:UNUSED_PAD src0_sel:WORD_0 src1_sel:DWORD
	v_lshlrev_b32_e32 v0, 4, v21
	v_lshrrev_b32_e32 v76, 19, v8
	global_load_dwordx4 v[0:3], v0, s[8:9]
	v_mul_lo_u16_e32 v8, 10, v76
	v_sub_u16_e32 v68, v68, v8
	v_lshlrev_b32_e32 v8, 4, v68
	global_load_dwordx4 v[28:31], v8, s[8:9]
	v_mul_u32_u24_sdwa v8, v66, s5 dst_sel:DWORD dst_unused:UNUSED_PAD src0_sel:WORD_0 src1_sel:DWORD
	v_lshlrev_b32_e32 v4, 4, v22
	global_load_dwordx4 v[4:7], v4, s[8:9]
	v_lshrrev_b32_e32 v91, 19, v8
	v_mul_lo_u16_e32 v8, 10, v91
	v_sub_u16_e32 v66, v66, v8
	v_lshlrev_b32_e32 v8, 4, v66
	global_load_dwordx4 v[32:35], v8, s[8:9]
	v_mul_u32_u24_sdwa v8, v64, s5 dst_sel:DWORD dst_unused:UNUSED_PAD src0_sel:WORD_0 src1_sel:DWORD
	v_lshrrev_b32_e32 v138, 19, v8
	v_mul_lo_u16_e32 v8, 10, v138
	v_sub_u16_e32 v64, v64, v8
	v_lshlrev_b32_e32 v8, 4, v64
	global_load_dwordx4 v[36:39], v8, s[8:9]
	v_mul_u32_u24_sdwa v8, v62, s5 dst_sel:DWORD dst_unused:UNUSED_PAD src0_sel:WORD_0 src1_sel:DWORD
	v_lshrrev_b32_e32 v139, 19, v8
	v_mul_lo_u16_e32 v8, 10, v139
	v_sub_u16_e32 v140, v62, v8
	v_lshlrev_b32_e32 v8, 4, v140
	s_movk_i32 s11, 0xcd
	global_load_dwordx4 v[40:43], v8, s[8:9]
	v_mul_lo_u16_sdwa v8, v141, s11 dst_sel:DWORD dst_unused:UNUSED_PAD src0_sel:BYTE_0 src1_sel:DWORD
	v_lshrrev_b16_e32 v142, 11, v8
	v_mul_lo_u16_e32 v8, 10, v142
	v_sub_u16_e32 v143, v141, v8
	v_mov_b32_e32 v8, 4
	v_lshlrev_b32_sdwa v9, v8, v143 dst_sel:DWORD dst_unused:UNUSED_PAD src0_sel:DWORD src1_sel:BYTE_0
	global_load_dwordx4 v[44:47], v9, s[8:9]
	v_mul_u32_u24_sdwa v9, v70, s5 dst_sel:DWORD dst_unused:UNUSED_PAD src0_sel:WORD_0 src1_sel:DWORD
	v_lshrrev_b32_e32 v144, 19, v9
	v_mul_lo_u16_e32 v9, 10, v144
	v_sub_u16_e32 v70, v70, v9
	v_lshlrev_b32_e32 v9, 4, v70
	global_load_dwordx4 v[48:51], v9, s[8:9]
	v_add_u32_e32 v9, 0x3400, v94
	ds_read2_b64 v[10:13], v9 offset0:36 offset1:136
	ds_read2_b64 v[14:17], v100 offset0:140 offset1:240
	v_mul_lo_u16_sdwa v9, v58, s11 dst_sel:DWORD dst_unused:UNUSED_PAD src0_sel:BYTE_0 src1_sel:DWORD
	v_lshrrev_b16_e32 v136, 11, v9
	v_mul_lo_u16_e32 v9, 10, v136
	v_sub_u16_e32 v137, v58, v9
	v_lshlrev_b32_sdwa v8, v8, v137 dst_sel:DWORD dst_unused:UNUSED_PAD src0_sel:DWORD src1_sel:BYTE_0
	global_load_dwordx4 v[52:55], v8, s[8:9]
	v_add_u32_e32 v90, 0x2c00, v94
	ds_read2_b64 v[78:81], v90 offset0:92 offset1:192
	s_mov_b32 s5, 0x5040100
	s_movk_i32 s11, 0xf0
	s_waitcnt vmcnt(8) lgkmcnt(2)
	v_pk_mul_f32 v[18:19], v[12:13], v[0:1] op_sel:[0,1]
	s_nop 0
	v_pk_fma_f32 v[8:9], v[12:13], v[0:1], v[18:19] op_sel:[0,0,1] op_sel_hi:[1,1,0] neg_lo:[0,0,1] neg_hi:[0,0,1]
	v_pk_fma_f32 v[12:13], v[12:13], v[0:1], v[18:19] op_sel:[0,0,1] op_sel_hi:[1,0,0]
	v_mov_b32_e32 v0, v3
	s_waitcnt lgkmcnt(1)
	v_pk_mul_f32 v[18:19], v[16:17], v[0:1] op_sel_hi:[1,0]
	s_waitcnt vmcnt(7)
	v_mov_b32_e32 v12, v31
	v_pk_fma_f32 v[0:1], v[16:17], v[2:3], v[18:19] op_sel:[0,0,1] op_sel_hi:[1,1,0] neg_lo:[0,0,1] neg_hi:[0,0,1]
	v_pk_fma_f32 v[16:17], v[16:17], v[2:3], v[18:19] op_sel:[0,0,1] op_sel_hi:[1,0,0]
	v_add_u32_e32 v1, 0x4c00, v94
	s_waitcnt vmcnt(6)
	v_pk_mul_f32 v[18:19], v[10:11], v[4:5] op_sel:[0,1]
	ds_read2_b64 v[82:85], v1 offset0:68 offset1:168
	v_pk_fma_f32 v[2:3], v[10:11], v[4:5], v[18:19] op_sel:[0,0,1] op_sel_hi:[1,1,0] neg_lo:[0,0,1] neg_hi:[0,0,1]
	v_pk_fma_f32 v[18:19], v[10:11], v[4:5], v[18:19] op_sel:[0,0,1] op_sel_hi:[1,0,0]
	v_mov_b32_e32 v4, v7
	v_pk_mul_f32 v[10:11], v[14:15], v[4:5] op_sel_hi:[1,0]
	v_add_u32_e32 v1, 0x4400, v94
	v_pk_fma_f32 v[4:5], v[14:15], v[6:7], v[10:11] op_sel:[0,0,1] op_sel_hi:[1,1,0] neg_lo:[0,0,1] neg_hi:[0,0,1]
	v_pk_fma_f32 v[86:87], v[14:15], v[6:7], v[10:11] op_sel:[0,0,1] op_sel_hi:[1,0,0]
	s_waitcnt lgkmcnt(1)
	v_pk_mul_f32 v[10:11], v[80:81], v[24:25] op_sel:[0,1]
	v_mov_b32_e32 v9, v13
	v_pk_fma_f32 v[6:7], v[80:81], v[24:25], v[10:11] op_sel:[0,0,1] op_sel_hi:[1,1,0] neg_lo:[0,0,1] neg_hi:[0,0,1]
	v_pk_fma_f32 v[80:81], v[80:81], v[24:25], v[10:11] op_sel:[0,0,1] op_sel_hi:[1,0,0]
	v_mov_b32_e32 v10, v27
	s_waitcnt lgkmcnt(0)
	v_pk_mul_f32 v[14:15], v[84:85], v[10:11] op_sel_hi:[1,0]
	v_pk_mul_f32 v[24:25], v[78:79], v[28:29] op_sel:[0,1]
	v_pk_fma_f32 v[10:11], v[84:85], v[26:27], v[14:15] op_sel:[0,0,1] op_sel_hi:[1,1,0] neg_lo:[0,0,1] neg_hi:[0,0,1]
	v_pk_fma_f32 v[14:15], v[84:85], v[26:27], v[14:15] op_sel:[0,0,1] op_sel_hi:[1,0,0]
	v_pk_fma_f32 v[84:85], v[78:79], v[28:29], v[24:25] op_sel:[0,0,1] op_sel_hi:[1,1,0] neg_lo:[0,0,1] neg_hi:[0,0,1]
	v_pk_fma_f32 v[78:79], v[78:79], v[28:29], v[24:25] op_sel:[0,0,1] op_sel_hi:[1,0,0]
	v_pk_mul_f32 v[28:29], v[82:83], v[12:13] op_sel_hi:[1,0]
	ds_read2_b64 v[24:27], v103 offset0:20 offset1:120
	v_pk_fma_f32 v[88:89], v[82:83], v[30:31], v[28:29] op_sel:[0,0,1] op_sel_hi:[1,1,0] neg_lo:[0,0,1] neg_hi:[0,0,1]
	v_pk_fma_f32 v[82:83], v[82:83], v[30:31], v[28:29] op_sel:[0,0,1] op_sel_hi:[1,0,0]
	ds_read2_b64 v[28:31], v1 offset0:124 offset1:224
	s_waitcnt vmcnt(5)
	v_mov_b32_e32 v12, v35
	s_waitcnt lgkmcnt(1)
	v_pk_mul_f32 v[92:93], v[26:27], v[32:33] op_sel:[0,1]
	v_add_u32_e32 v1, 0x2000, v94
	v_pk_fma_f32 v[108:109], v[26:27], v[32:33], v[92:93] op_sel:[0,0,1] op_sel_hi:[1,1,0] neg_lo:[0,0,1] neg_hi:[0,0,1]
	v_pk_fma_f32 v[32:33], v[26:27], v[32:33], v[92:93] op_sel:[0,0,1] op_sel_hi:[1,0,0]
	s_waitcnt lgkmcnt(0)
	v_pk_mul_f32 v[26:27], v[30:31], v[12:13] op_sel_hi:[1,0]
	s_waitcnt vmcnt(4)
	v_mov_b32_e32 v12, v39
	v_pk_fma_f32 v[92:93], v[30:31], v[34:35], v[26:27] op_sel:[0,0,1] op_sel_hi:[1,1,0] neg_lo:[0,0,1] neg_hi:[0,0,1]
	v_pk_fma_f32 v[34:35], v[30:31], v[34:35], v[26:27] op_sel:[0,0,1] op_sel_hi:[1,0,0]
	v_pk_mul_f32 v[26:27], v[24:25], v[36:37] op_sel:[0,1]
	v_pk_mul_f32 v[30:31], v[28:29], v[12:13] op_sel_hi:[1,0]
	v_pk_fma_f32 v[110:111], v[24:25], v[36:37], v[26:27] op_sel:[0,0,1] op_sel_hi:[1,1,0] neg_lo:[0,0,1] neg_hi:[0,0,1]
	v_pk_fma_f32 v[36:37], v[24:25], v[36:37], v[26:27] op_sel:[0,0,1] op_sel_hi:[1,0,0]
	ds_read2_b64 v[24:27], v1 offset0:76 offset1:176
	v_pk_fma_f32 v[112:113], v[28:29], v[38:39], v[30:31] op_sel:[0,0,1] op_sel_hi:[1,1,0] neg_lo:[0,0,1] neg_hi:[0,0,1]
	v_pk_fma_f32 v[38:39], v[28:29], v[38:39], v[30:31] op_sel:[0,0,1] op_sel_hi:[1,0,0]
	ds_read2_b64 v[28:31], v99 offset0:52 offset1:152
	s_waitcnt vmcnt(3)
	v_mov_b32_e32 v12, v43
	s_waitcnt lgkmcnt(1)
	v_pk_mul_f32 v[114:115], v[26:27], v[40:41] op_sel:[0,1]
	v_mul_u32_u24_e32 v1, 0xf0, v136
	v_pk_fma_f32 v[116:117], v[26:27], v[40:41], v[114:115] op_sel:[0,0,1] op_sel_hi:[1,1,0] neg_lo:[0,0,1] neg_hi:[0,0,1]
	v_pk_fma_f32 v[40:41], v[26:27], v[40:41], v[114:115] op_sel:[0,0,1] op_sel_hi:[1,0,0]
	s_waitcnt lgkmcnt(0)
	v_pk_mul_f32 v[26:27], v[30:31], v[12:13] op_sel_hi:[1,0]
	s_waitcnt vmcnt(2)
	v_mov_b32_e32 v12, v47
	v_pk_fma_f32 v[114:115], v[30:31], v[42:43], v[26:27] op_sel:[0,0,1] op_sel_hi:[1,1,0] neg_lo:[0,0,1] neg_hi:[0,0,1]
	v_pk_fma_f32 v[30:31], v[30:31], v[42:43], v[26:27] op_sel:[0,0,1] op_sel_hi:[1,0,0]
	v_pk_mul_f32 v[26:27], v[24:25], v[44:45] op_sel:[0,1]
	v_mov_b32_e32 v117, v41
	v_pk_fma_f32 v[42:43], v[24:25], v[44:45], v[26:27] op_sel:[0,0,1] op_sel_hi:[1,1,0] neg_lo:[0,0,1] neg_hi:[0,0,1]
	v_pk_fma_f32 v[44:45], v[24:25], v[44:45], v[26:27] op_sel:[0,0,1] op_sel_hi:[1,0,0]
	v_pk_mul_f32 v[24:25], v[28:29], v[12:13] op_sel_hi:[1,0]
	s_waitcnt vmcnt(1)
	v_mov_b32_e32 v12, v51
	v_pk_fma_f32 v[118:119], v[28:29], v[46:47], v[24:25] op_sel:[0,0,1] op_sel_hi:[1,1,0] neg_lo:[0,0,1] neg_hi:[0,0,1]
	v_pk_fma_f32 v[28:29], v[28:29], v[46:47], v[24:25] op_sel:[0,0,1] op_sel_hi:[1,0,0]
	ds_read_b64 v[46:47], v94 offset:23200
	ds_read2_b64 v[24:27], v95 offset0:108 offset1:208
	ds_read_b64 v[120:121], v59
	ds_read_b64 v[122:123], v105
	;; [unrolled: 1-line block ×3, first 2 shown]
	s_waitcnt lgkmcnt(4)
	v_pk_mul_f32 v[126:127], v[46:47], v[12:13] op_sel_hi:[1,0]
	s_waitcnt vmcnt(0)
	v_mov_b32_e32 v12, v55
	v_pk_fma_f32 v[128:129], v[46:47], v[50:51], v[126:127] op_sel:[0,0,1] op_sel_hi:[1,1,0] neg_lo:[0,0,1] neg_hi:[0,0,1]
	v_pk_fma_f32 v[46:47], v[46:47], v[50:51], v[126:127] op_sel:[0,0,1] op_sel_hi:[1,0,0]
	s_waitcnt lgkmcnt(3)
	v_pk_mul_f32 v[50:51], v[24:25], v[48:49] op_sel:[0,1]
	v_mov_b32_e32 v43, v45
	v_pk_fma_f32 v[126:127], v[24:25], v[48:49], v[50:51] op_sel:[0,0,1] op_sel_hi:[1,1,0] neg_lo:[0,0,1] neg_hi:[0,0,1]
	v_pk_fma_f32 v[48:49], v[24:25], v[48:49], v[50:51] op_sel:[0,0,1] op_sel_hi:[1,0,0]
	ds_read2_b32 v[50:51], v75 offset0:208 offset1:209
	v_pk_mul_f32 v[24:25], v[26:27], v[12:13] op_sel_hi:[1,0]
	v_mov_b32_e32 v119, v29
	v_pk_fma_f32 v[130:131], v[26:27], v[54:55], v[24:25] op_sel:[0,0,1] op_sel_hi:[1,1,0] neg_lo:[0,0,1] neg_hi:[0,0,1]
	v_pk_fma_f32 v[54:55], v[26:27], v[54:55], v[24:25] op_sel:[0,0,1] op_sel_hi:[1,0,0]
	s_waitcnt lgkmcnt(0)
	v_mov_b32_e32 v12, v51
	ds_read2_b64 v[24:27], v94 offset1:100
	v_pk_mul_f32 v[132:133], v[12:13], v[52:53] op_sel_hi:[0,1]
	v_pk_fma_f32 v[134:135], v[52:53], v[50:51], v[132:133] op_sel:[0,0,1] op_sel_hi:[1,1,0] neg_lo:[0,0,1] neg_hi:[0,0,1]
	v_pk_fma_f32 v[50:51], v[52:53], v[50:51], v[132:133] op_sel:[0,0,1] op_sel_hi:[1,0,0]
	v_mov_b32_e32 v131, v55
	v_mov_b32_e32 v135, v51
	v_pk_add_f32 v[52:53], v[134:135], v[130:131]
	v_pk_add_f32 v[54:55], v[134:135], v[130:131] neg_lo:[0,1] neg_hi:[0,1]
	s_waitcnt lgkmcnt(0)
	v_pk_add_f32 v[50:51], v[24:25], v[134:135]
	v_pk_fma_f32 v[24:25], v[52:53], 0.5, v[24:25] op_sel_hi:[1,0,1] neg_lo:[1,0,0] neg_hi:[1,0,0]
	v_pk_mul_f32 v[52:53], v[54:55], s[20:21] op_sel_hi:[1,0]
	v_mov_b32_e32 v54, 3
	v_pk_add_f32 v[50:51], v[50:51], v[130:131]
	v_pk_add_f32 v[130:131], v[24:25], v[52:53] op_sel:[0,1] op_sel_hi:[1,0]
	v_pk_add_f32 v[24:25], v[24:25], v[52:53] op_sel:[0,1] op_sel_hi:[1,0] neg_lo:[0,1] neg_hi:[0,1]
	v_lshlrev_b32_sdwa v3, v54, v137 dst_sel:DWORD dst_unused:UNUSED_PAD src0_sel:DWORD src1_sel:BYTE_0
	v_add3_u32 v1, 0, v1, v3
	v_mov_b32_e32 v137, v25
	v_mov_b32_e32 v25, v131
	ds_read_b64 v[52:53], v104
	ds_read_b64 v[104:105], v107
	;; [unrolled: 1-line block ×5, first 2 shown]
	s_waitcnt lgkmcnt(0)
	s_barrier
	ds_write_b64 v1, v[24:25] offset:160
	v_pk_add_f32 v[24:25], v[42:43], v[118:119]
	v_pk_add_f32 v[28:29], v[42:43], v[118:119] neg_lo:[0,1] neg_hi:[0,1]
	v_mov_b32_e32 v136, v130
	v_pk_fma_f32 v[24:25], v[24:25], 0.5, v[26:27] op_sel_hi:[1,0,1] neg_lo:[1,0,0] neg_hi:[1,0,0]
	v_pk_mul_f32 v[28:29], v[28:29], s[20:21] op_sel_hi:[1,0]
	ds_write2_b64 v1, v[50:51], v[136:137] offset1:10
	v_pk_add_f32 v[26:27], v[26:27], v[42:43]
	v_pk_add_f32 v[42:43], v[24:25], v[28:29] op_sel:[0,1] op_sel_hi:[1,0]
	v_pk_add_f32 v[24:25], v[24:25], v[28:29] op_sel:[0,1] op_sel_hi:[1,0] neg_lo:[0,1] neg_hi:[0,1]
	v_mul_u32_u24_e32 v1, 0xf0, v142
	v_lshlrev_b32_sdwa v3, v54, v143 dst_sel:DWORD dst_unused:UNUSED_PAD src0_sel:DWORD src1_sel:BYTE_0
	v_pk_add_f32 v[26:27], v[26:27], v[118:119]
	v_add3_u32 v1, 0, v1, v3
	v_mov_b32_e32 v28, v42
	v_mov_b32_e32 v29, v25
	;; [unrolled: 1-line block ×4, first 2 shown]
	ds_write2_b64 v1, v[26:27], v[28:29] offset1:10
	ds_write_b64 v1, v[24:25] offset:160
	v_pk_add_f32 v[24:25], v[116:117], v[114:115]
	v_pk_add_f32 v[28:29], v[116:117], v[114:115] neg_lo:[0,1] neg_hi:[0,1]
	v_perm_b32 v1, v138, v139, s5
	v_pk_fma_f32 v[24:25], v[24:25], 0.5, v[120:121] op_sel_hi:[1,0,1] neg_lo:[1,0,0] neg_hi:[1,0,0]
	v_pk_mul_f32 v[28:29], v[28:29], s[20:21] op_sel_hi:[1,0]
	v_pk_mul_lo_u16 v1, v1, s11 op_sel_hi:[1,0]
	v_pk_add_f32 v[26:27], v[120:121], v[116:117]
	v_pk_add_f32 v[30:31], v[24:25], v[28:29] op_sel:[0,1] op_sel_hi:[1,0]
	v_pk_add_f32 v[24:25], v[24:25], v[28:29] op_sel:[0,1] op_sel_hi:[1,0] neg_lo:[0,1] neg_hi:[0,1]
	v_lshlrev_b32_e32 v3, 3, v140
	v_and_b32_e32 v5, 0xfff0, v1
	v_pk_add_f32 v[26:27], v[26:27], v[114:115]
	v_add3_u32 v3, 0, v5, v3
	v_mov_b32_e32 v28, v30
	v_mov_b32_e32 v29, v25
	;; [unrolled: 1-line block ×5, first 2 shown]
	ds_write2_b64 v3, v[26:27], v[28:29] offset1:10
	ds_write_b64 v3, v[24:25] offset:160
	v_pk_add_f32 v[24:25], v[110:111], v[112:113]
	v_pk_add_f32 v[28:29], v[110:111], v[112:113] neg_lo:[0,1] neg_hi:[0,1]
	v_pk_fma_f32 v[24:25], v[24:25], 0.5, v[124:125] op_sel_hi:[1,0,1] neg_lo:[1,0,0] neg_hi:[1,0,0]
	v_pk_mul_f32 v[28:29], v[28:29], s[20:21] op_sel_hi:[1,0]
	v_pk_add_f32 v[26:27], v[124:125], v[110:111]
	v_pk_add_f32 v[30:31], v[24:25], v[28:29] op_sel:[0,1] op_sel_hi:[1,0]
	v_pk_add_f32 v[24:25], v[24:25], v[28:29] op_sel:[0,1] op_sel_hi:[1,0] neg_lo:[0,1] neg_hi:[0,1]
	v_lshrrev_b32_e32 v1, 16, v1
	v_lshlrev_b32_e32 v3, 3, v64
	v_pk_add_f32 v[26:27], v[26:27], v[112:113]
	v_add3_u32 v1, 0, v1, v3
	v_mov_b32_e32 v28, v30
	v_mov_b32_e32 v29, v25
	;; [unrolled: 1-line block ×5, first 2 shown]
	v_perm_b32 v11, v23, v74, s5
	ds_write2_b64 v1, v[26:27], v[28:29] offset1:10
	ds_write_b64 v1, v[24:25] offset:160
	v_pk_add_f32 v[24:25], v[108:109], v[92:93]
	v_pk_add_f32 v[28:29], v[108:109], v[92:93] neg_lo:[0,1] neg_hi:[0,1]
	v_perm_b32 v1, v76, v91, s5
	v_pk_mul_lo_u16 v11, v11, s11 op_sel_hi:[1,0]
	v_pk_fma_f32 v[24:25], v[24:25], 0.5, v[122:123] op_sel_hi:[1,0,1] neg_lo:[1,0,0] neg_hi:[1,0,0]
	v_pk_mul_f32 v[28:29], v[28:29], s[20:21] op_sel_hi:[1,0]
	v_pk_mul_lo_u16 v1, v1, s11 op_sel_hi:[1,0]
	v_lshlrev_b32_e32 v12, 3, v72
	v_and_b32_e32 v13, 0xfff0, v11
	v_pk_add_f32 v[26:27], v[122:123], v[108:109]
	v_pk_add_f32 v[30:31], v[24:25], v[28:29] op_sel:[0,1] op_sel_hi:[1,0]
	v_pk_add_f32 v[24:25], v[24:25], v[28:29] op_sel:[0,1] op_sel_hi:[1,0] neg_lo:[0,1] neg_hi:[0,1]
	v_lshlrev_b32_e32 v3, 3, v66
	v_and_b32_e32 v5, 0xfff0, v1
	v_add3_u32 v23, 0, v13, v12
	v_lshrrev_b32_e32 v11, 16, v11
	v_lshlrev_b32_e32 v12, 3, v22
	v_pk_add_f32 v[26:27], v[26:27], v[92:93]
	v_add3_u32 v3, 0, v5, v3
	v_mov_b32_e32 v28, v30
	v_mov_b32_e32 v29, v25
	;; [unrolled: 1-line block ×5, first 2 shown]
	v_add3_u32 v22, 0, v11, v12
	v_perm_b32 v11, v144, v20, s5
	ds_write2_b64 v3, v[26:27], v[28:29] offset1:10
	ds_write_b64 v3, v[24:25] offset:160
	v_pk_add_f32 v[24:25], v[84:85], v[88:89]
	v_pk_add_f32 v[28:29], v[84:85], v[88:89] neg_lo:[0,1] neg_hi:[0,1]
	v_pk_mul_lo_u16 v11, v11, s11 op_sel_hi:[1,0]
	v_pk_fma_f32 v[24:25], v[24:25], 0.5, v[52:53] op_sel_hi:[1,0,1] neg_lo:[1,0,0] neg_hi:[1,0,0]
	v_pk_mul_f32 v[28:29], v[28:29], s[20:21] op_sel_hi:[1,0]
	v_lshlrev_b32_e32 v12, 3, v21
	v_and_b32_e32 v13, 0xfff0, v11
	v_pk_add_f32 v[26:27], v[52:53], v[84:85]
	v_pk_add_f32 v[30:31], v[24:25], v[28:29] op_sel:[0,1] op_sel_hi:[1,0]
	v_pk_add_f32 v[24:25], v[24:25], v[28:29] op_sel:[0,1] op_sel_hi:[1,0] neg_lo:[0,1] neg_hi:[0,1]
	v_lshrrev_b32_e32 v1, 16, v1
	v_lshlrev_b32_e32 v3, 3, v68
	v_add3_u32 v20, 0, v13, v12
	v_lshrrev_b32_e32 v11, 16, v11
	v_lshlrev_b32_e32 v12, 3, v70
	v_pk_add_f32 v[26:27], v[26:27], v[88:89]
	v_add3_u32 v16, 0, v1, v3
	v_mov_b32_e32 v28, v30
	v_mov_b32_e32 v29, v25
	;; [unrolled: 1-line block ×3, first 2 shown]
	v_add3_u32 v21, 0, v11, v12
	v_mov_b32_e32 v11, v15
	v_mov_b32_e32 v25, v31
	ds_write2_b64 v16, v[26:27], v[28:29] offset1:10
	v_mov_b32_e32 v1, v17
	v_mov_b32_e32 v3, v19
	ds_write_b64 v16, v[24:25] offset:160
	v_pk_add_f32 v[16:17], v[6:7], v[10:11]
	v_pk_add_f32 v[18:19], v[132:133], v[6:7]
	v_pk_add_f32 v[6:7], v[6:7], v[10:11] neg_lo:[0,1] neg_hi:[0,1]
	v_pk_fma_f32 v[16:17], v[16:17], 0.5, v[132:133] op_sel_hi:[1,0,1] neg_lo:[1,0,0] neg_hi:[1,0,0]
	v_pk_mul_f32 v[6:7], v[6:7], s[20:21] op_sel_hi:[1,0]
	v_pk_add_f32 v[18:19], v[18:19], v[10:11]
	v_pk_add_f32 v[10:11], v[16:17], v[6:7] op_sel:[0,1] op_sel_hi:[1,0]
	v_pk_add_f32 v[6:7], v[16:17], v[6:7] op_sel:[0,1] op_sel_hi:[1,0] neg_lo:[0,1] neg_hi:[0,1]
	v_mov_b32_e32 v5, v87
	v_mov_b32_e32 v16, v10
	;; [unrolled: 1-line block ×4, first 2 shown]
	ds_write2_b64 v23, v[18:19], v[16:17] offset1:10
	v_pk_add_f32 v[16:17], v[106:107], v[2:3]
	ds_write_b64 v23, v[6:7] offset:160
	v_pk_add_f32 v[6:7], v[2:3], v[4:5]
	v_pk_add_f32 v[2:3], v[2:3], v[4:5] neg_lo:[0,1] neg_hi:[0,1]
	v_pk_fma_f32 v[6:7], v[6:7], 0.5, v[106:107] op_sel_hi:[1,0,1] neg_lo:[1,0,0] neg_hi:[1,0,0]
	v_pk_mul_f32 v[2:3], v[2:3], s[20:21] op_sel_hi:[1,0]
	v_pk_add_f32 v[16:17], v[16:17], v[4:5]
	v_pk_add_f32 v[4:5], v[6:7], v[2:3] op_sel:[0,1] op_sel_hi:[1,0]
	v_pk_add_f32 v[2:3], v[6:7], v[2:3] op_sel:[0,1] op_sel_hi:[1,0] neg_lo:[0,1] neg_hi:[0,1]
	v_pk_add_f32 v[14:15], v[104:105], v[8:9]
	v_mov_b32_e32 v7, v3
	v_mov_b32_e32 v3, v5
	v_pk_add_f32 v[14:15], v[14:15], v[0:1]
	ds_write_b64 v22, v[2:3] offset:160
	v_pk_add_f32 v[2:3], v[8:9], v[0:1]
	v_pk_add_f32 v[0:1], v[8:9], v[0:1] neg_lo:[0,1] neg_hi:[0,1]
	v_pk_fma_f32 v[2:3], v[2:3], 0.5, v[104:105] op_sel_hi:[1,0,1] neg_lo:[1,0,0] neg_hi:[1,0,0]
	v_pk_mul_f32 v[0:1], v[0:1], s[20:21] op_sel_hi:[1,0]
	v_mov_b32_e32 v6, v4
	v_pk_add_f32 v[4:5], v[2:3], v[0:1] op_sel:[0,1] op_sel_hi:[1,0]
	v_pk_add_f32 v[0:1], v[2:3], v[0:1] op_sel:[0,1] op_sel_hi:[1,0] neg_lo:[0,1] neg_hi:[0,1]
	v_mov_b32_e32 v127, v49
	v_mov_b32_e32 v129, v47
	;; [unrolled: 1-line block ×5, first 2 shown]
	ds_write2_b64 v22, v[16:17], v[6:7] offset1:10
	ds_write2_b64 v20, v[14:15], v[2:3] offset1:10
	ds_write_b64 v20, v[0:1] offset:160
	v_pk_add_f32 v[0:1], v[126:127], v[128:129]
	v_pk_add_f32 v[2:3], v[126:127], v[128:129] neg_lo:[0,1] neg_hi:[0,1]
	v_pk_fma_f32 v[0:1], v[0:1], 0.5, v[134:135] op_sel_hi:[1,0,1] neg_lo:[1,0,0] neg_hi:[1,0,0]
	v_pk_mul_f32 v[2:3], v[2:3], s[20:21] op_sel_hi:[1,0]
	s_mov_b32 s5, 0x8889
	v_pk_add_f32 v[4:5], v[0:1], v[2:3] op_sel:[0,1] op_sel_hi:[1,0]
	v_pk_add_f32 v[0:1], v[0:1], v[2:3] op_sel:[0,1] op_sel_hi:[1,0] neg_lo:[0,1] neg_hi:[0,1]
	v_pk_add_f32 v[12:13], v[134:135], v[126:127]
	v_mov_b32_e32 v3, v1
	v_mov_b32_e32 v1, v5
	ds_write_b64 v21, v[0:1] offset:160
	v_mul_u32_u24_sdwa v0, v62, s5 dst_sel:DWORD dst_unused:UNUSED_PAD src0_sel:WORD_0 src1_sel:DWORD
	v_lshrrev_b32_e32 v64, 20, v0
	v_mul_lo_u16_e32 v0, 30, v64
	v_sub_u16_e32 v66, v62, v0
	v_mul_u32_u24_e32 v0, 9, v66
	v_pk_add_f32 v[12:13], v[12:13], v[128:129]
	v_mov_b32_e32 v2, v4
	v_lshlrev_b32_e32 v72, 3, v0
	ds_write2_b64 v21, v[12:13], v[2:3] offset1:10
	s_waitcnt lgkmcnt(0)
	s_barrier
	global_load_dwordx4 v[4:7], v72, s[8:9] offset:160
	s_movk_i32 s5, 0x89
	v_mul_lo_u16_sdwa v0, v141, s5 dst_sel:DWORD dst_unused:UNUSED_PAD src0_sel:BYTE_0 src1_sel:DWORD
	v_lshrrev_b16_e32 v68, 12, v0
	v_mul_lo_u16_e32 v0, 30, v68
	v_mov_b32_e32 v8, 9
	v_sub_u16_e32 v70, v141, v0
	v_mul_u32_u24_sdwa v0, v70, v8 dst_sel:DWORD dst_unused:UNUSED_PAD src0_sel:BYTE_0 src1_sel:DWORD
	v_lshlrev_b32_e32 v74, 3, v0
	global_load_dwordx4 v[0:3], v74, s[8:9] offset:160
	global_load_dwordx2 v[42:43], v72, s[8:9] offset:224
	global_load_dwordx2 v[36:37], v74, s[8:9] offset:224
	v_mul_lo_u16_sdwa v9, v58, s5 dst_sel:DWORD dst_unused:UNUSED_PAD src0_sel:BYTE_0 src1_sel:DWORD
	v_lshrrev_b16_e32 v76, 12, v9
	v_mul_lo_u16_e32 v9, 30, v76
	v_sub_u16_e32 v91, v58, v9
	v_mul_u32_u24_sdwa v8, v91, v8 dst_sel:DWORD dst_unused:UNUSED_PAD src0_sel:BYTE_0 src1_sel:DWORD
	v_lshlrev_b32_e32 v40, 3, v8
	global_load_dwordx4 v[8:11], v40, s[8:9] offset:160
	global_load_dwordx4 v[12:15], v40, s[8:9] offset:176
	global_load_dwordx4 v[16:19], v74, s[8:9] offset:176
	global_load_dwordx4 v[20:23], v72, s[8:9] offset:176
	global_load_dwordx4 v[24:27], v40, s[8:9] offset:192
	global_load_dwordx4 v[28:31], v74, s[8:9] offset:192
	global_load_dwordx4 v[78:81], v72, s[8:9] offset:192
	global_load_dwordx4 v[104:107], v72, s[8:9] offset:208
	global_load_dwordx4 v[82:85], v40, s[8:9] offset:208
	global_load_dwordx2 v[92:93], v40, s[8:9] offset:224
	global_load_dwordx4 v[86:89], v74, s[8:9] offset:208
	ds_read2_b64 v[44:47], v102 offset0:144 offset1:244
	v_add_u32_e32 v55, 0x1400, v94
	ds_read2_b64 v[48:51], v55 offset0:60 offset1:160
	s_mov_b64 s[20:21], 0x1c20
	s_waitcnt vmcnt(14) lgkmcnt(1)
	v_pk_mul_f32 v[34:35], v[46:47], v[4:5] op_sel:[0,1]
	s_nop 0
	v_pk_fma_f32 v[32:33], v[46:47], v[4:5], v[34:35] op_sel:[0,0,1] op_sel_hi:[1,1,0] neg_lo:[0,0,1] neg_hi:[0,0,1]
	v_pk_fma_f32 v[34:35], v[46:47], v[4:5], v[34:35] op_sel:[0,0,1] op_sel_hi:[1,0,0]
	v_mov_b32_e32 v4, v7
	s_waitcnt lgkmcnt(0)
	v_pk_mul_f32 v[38:39], v[50:51], v[4:5] op_sel_hi:[1,0]
	v_mov_b32_e32 v33, v35
	v_pk_fma_f32 v[4:5], v[50:51], v[6:7], v[38:39] op_sel:[0,0,1] op_sel_hi:[1,1,0] neg_lo:[0,0,1] neg_hi:[0,0,1]
	v_pk_fma_f32 v[6:7], v[50:51], v[6:7], v[38:39] op_sel:[0,0,1] op_sel_hi:[1,0,0]
	ds_read2_b64 v[50:53], v73 offset0:112 offset1:212
	s_waitcnt vmcnt(13)
	v_pk_mul_f32 v[40:41], v[44:45], v[0:1] op_sel:[0,1]
	v_mov_b32_e32 v5, v7
	v_pk_fma_f32 v[38:39], v[44:45], v[0:1], v[40:41] op_sel:[0,0,1] op_sel_hi:[1,1,0] neg_lo:[0,0,1] neg_hi:[0,0,1]
	v_pk_fma_f32 v[44:45], v[44:45], v[0:1], v[40:41] op_sel:[0,0,1] op_sel_hi:[1,0,0]
	v_mov_b32_e32 v0, v3
	v_pk_mul_f32 v[0:1], v[48:49], v[0:1] op_sel_hi:[1,0]
	v_mov_b32_e32 v39, v45
	v_pk_fma_f32 v[40:41], v[48:49], v[2:3], v[0:1] op_sel:[0,0,1] op_sel_hi:[1,1,0] neg_lo:[0,0,1] neg_hi:[0,0,1]
	v_pk_fma_f32 v[46:47], v[48:49], v[2:3], v[0:1] op_sel:[0,0,1] op_sel_hi:[1,0,0]
	s_waitcnt vmcnt(12) lgkmcnt(0)
	v_pk_mul_f32 v[2:3], v[52:53], v[42:43] op_sel:[0,1]
	s_waitcnt vmcnt(11)
	v_pk_mul_f32 v[48:49], v[50:51], v[36:37] op_sel:[0,1]
	v_pk_fma_f32 v[0:1], v[52:53], v[42:43], v[2:3] op_sel:[0,0,1] op_sel_hi:[1,1,0] neg_lo:[0,0,1] neg_hi:[0,0,1]
	v_pk_fma_f32 v[2:3], v[52:53], v[42:43], v[2:3] op_sel:[0,0,1] op_sel_hi:[1,0,0]
	ds_read_b64 v[52:53], v65
	v_pk_fma_f32 v[42:43], v[50:51], v[36:37], v[48:49] op_sel:[0,0,1] op_sel_hi:[1,1,0] neg_lo:[0,0,1] neg_hi:[0,0,1]
	v_pk_fma_f32 v[48:49], v[50:51], v[36:37], v[48:49] op_sel:[0,0,1] op_sel_hi:[1,0,0]
	ds_read_b64 v[50:51], v67
	ds_read_b64 v[36:37], v59
	ds_read2_b32 v[112:113], v69 offset1:1
	s_waitcnt vmcnt(10) lgkmcnt(3)
	v_pk_mul_f32 v[108:109], v[8:9], v[52:53] op_sel:[0,1]
	v_mul_u32_u24_e32 v1, 0x960, v76
	v_pk_fma_f32 v[110:111], v[8:9], v[52:53], v[108:109] op_sel:[0,0,1] op_sel_hi:[1,1,0] neg_lo:[0,0,1] neg_hi:[0,0,1]
	v_pk_fma_f32 v[108:109], v[8:9], v[52:53], v[108:109] op_sel:[0,0,1] op_sel_hi:[1,0,0]
	s_waitcnt lgkmcnt(2)
	v_pk_mul_f32 v[8:9], v[10:11], v[50:51] op_sel:[0,1]
	s_waitcnt lgkmcnt(0)
	v_mov_b32_e32 v2, v113
	v_pk_fma_f32 v[114:115], v[10:11], v[50:51], v[8:9] op_sel:[0,0,1] op_sel_hi:[1,1,0] neg_lo:[0,0,1] neg_hi:[0,0,1]
	v_pk_fma_f32 v[116:117], v[10:11], v[50:51], v[8:9] op_sel:[0,0,1] op_sel_hi:[1,0,0]
	ds_read2_b64 v[8:11], v97 offset0:48 offset1:148
	s_waitcnt vmcnt(9)
	v_pk_mul_f32 v[50:51], v[2:3], v[12:13] op_sel_hi:[0,1]
	v_mov_b32_e32 v2, v15
	v_pk_fma_f32 v[118:119], v[12:13], v[112:113], v[50:51] op_sel:[0,0,1] op_sel_hi:[1,1,0] neg_lo:[0,0,1] neg_hi:[0,0,1]
	v_pk_fma_f32 v[112:113], v[12:13], v[112:113], v[50:51] op_sel:[0,0,1] op_sel_hi:[1,0,0]
	s_waitcnt lgkmcnt(0)
	v_pk_mul_f32 v[12:13], v[8:9], v[2:3] op_sel_hi:[1,0]
	s_waitcnt vmcnt(8)
	v_mov_b32_e32 v2, v19
	v_pk_fma_f32 v[120:121], v[8:9], v[14:15], v[12:13] op_sel:[0,0,1] op_sel_hi:[1,1,0] neg_lo:[0,0,1] neg_hi:[0,0,1]
	v_pk_fma_f32 v[122:123], v[8:9], v[14:15], v[12:13] op_sel:[0,0,1] op_sel_hi:[1,0,0]
	ds_read2_b64 v[12:15], v75 offset0:104 offset1:204
	v_pk_mul_f32 v[8:9], v[10:11], v[2:3] op_sel_hi:[1,0]
	s_waitcnt vmcnt(7)
	v_mov_b32_e32 v2, v23
	v_pk_fma_f32 v[52:53], v[10:11], v[18:19], v[8:9] op_sel:[0,0,1] op_sel_hi:[1,1,0] neg_lo:[0,0,1] neg_hi:[0,0,1]
	v_pk_fma_f32 v[124:125], v[10:11], v[18:19], v[8:9] op_sel:[0,0,1] op_sel_hi:[1,0,0]
	s_waitcnt lgkmcnt(0)
	v_pk_mul_f32 v[8:9], v[12:13], v[16:17] op_sel:[0,1]
	v_pk_mul_f32 v[10:11], v[14:15], v[20:21] op_sel:[0,1]
	v_pk_fma_f32 v[50:51], v[12:13], v[16:17], v[8:9] op_sel:[0,0,1] op_sel_hi:[1,1,0] neg_lo:[0,0,1] neg_hi:[0,0,1]
	v_pk_fma_f32 v[126:127], v[12:13], v[16:17], v[8:9] op_sel:[0,0,1] op_sel_hi:[1,0,0]
	ds_read2_b64 v[16:19], v103 offset0:120 offset1:220
	v_pk_fma_f32 v[8:9], v[14:15], v[20:21], v[10:11] op_sel:[0,0,1] op_sel_hi:[1,1,0] neg_lo:[0,0,1] neg_hi:[0,0,1]
	v_pk_fma_f32 v[20:21], v[14:15], v[20:21], v[10:11] op_sel:[0,0,1] op_sel_hi:[1,0,0]
	v_mov_b32_e32 v115, v117
	v_mov_b32_e32 v121, v123
	s_waitcnt lgkmcnt(0)
	v_pk_mul_f32 v[12:13], v[16:17], v[2:3] op_sel_hi:[1,0]
	s_waitcnt vmcnt(6)
	v_mov_b32_e32 v2, v27
	v_pk_fma_f32 v[10:11], v[16:17], v[22:23], v[12:13] op_sel:[0,0,1] op_sel_hi:[1,1,0] neg_lo:[0,0,1] neg_hi:[0,0,1]
	v_pk_fma_f32 v[22:23], v[16:17], v[22:23], v[12:13] op_sel:[0,0,1] op_sel_hi:[1,0,0]
	ds_read2_b64 v[12:15], v95 offset0:8 offset1:108
	v_pk_mul_f32 v[16:17], v[18:19], v[24:25] op_sel:[0,1]
	v_mov_b32_e32 v111, v109
	v_pk_fma_f32 v[128:129], v[18:19], v[24:25], v[16:17] op_sel:[0,0,1] op_sel_hi:[1,1,0] neg_lo:[0,0,1] neg_hi:[0,0,1]
	v_pk_fma_f32 v[130:131], v[18:19], v[24:25], v[16:17] op_sel:[0,0,1] op_sel_hi:[1,0,0]
	s_waitcnt lgkmcnt(0)
	v_pk_mul_f32 v[16:17], v[12:13], v[2:3] op_sel_hi:[1,0]
	s_waitcnt vmcnt(5)
	v_mov_b32_e32 v2, v31
	v_pk_fma_f32 v[132:133], v[12:13], v[26:27], v[16:17] op_sel:[0,0,1] op_sel_hi:[1,1,0] neg_lo:[0,0,1] neg_hi:[0,0,1]
	v_pk_fma_f32 v[134:135], v[12:13], v[26:27], v[16:17] op_sel:[0,0,1] op_sel_hi:[1,0,0]
	ds_read2_b64 v[16:19], v71 offset0:64 offset1:164
	v_pk_mul_f32 v[12:13], v[14:15], v[2:3] op_sel_hi:[1,0]
	s_waitcnt vmcnt(4)
	v_mov_b32_e32 v2, v81
	v_pk_fma_f32 v[136:137], v[14:15], v[30:31], v[12:13] op_sel:[0,0,1] op_sel_hi:[1,1,0] neg_lo:[0,0,1] neg_hi:[0,0,1]
	v_pk_fma_f32 v[138:139], v[14:15], v[30:31], v[12:13] op_sel:[0,0,1] op_sel_hi:[1,0,0]
	s_waitcnt lgkmcnt(0)
	v_pk_mul_f32 v[12:13], v[16:17], v[28:29] op_sel:[0,1]
	v_pk_mul_f32 v[14:15], v[18:19], v[78:79] op_sel:[0,1]
	v_pk_fma_f32 v[140:141], v[16:17], v[28:29], v[12:13] op_sel:[0,0,1] op_sel_hi:[1,1,0] neg_lo:[0,0,1] neg_hi:[0,0,1]
	v_pk_fma_f32 v[142:143], v[16:17], v[28:29], v[12:13] op_sel:[0,0,1] op_sel_hi:[1,0,0]
	ds_read2_b64 v[26:29], v77 offset0:80 offset1:180
	v_pk_fma_f32 v[12:13], v[18:19], v[78:79], v[14:15] op_sel:[0,0,1] op_sel_hi:[1,1,0] neg_lo:[0,0,1] neg_hi:[0,0,1]
	v_pk_fma_f32 v[24:25], v[18:19], v[78:79], v[14:15] op_sel:[0,0,1] op_sel_hi:[1,0,0]
	v_mov_b32_e32 v133, v135
	v_mov_b32_e32 v119, v113
	s_waitcnt lgkmcnt(0)
	v_pk_mul_f32 v[16:17], v[26:27], v[2:3] op_sel_hi:[1,0]
	s_waitcnt vmcnt(2)
	v_pk_mul_f32 v[30:31], v[28:29], v[82:83] op_sel:[0,1]
	v_pk_fma_f32 v[14:15], v[26:27], v[80:81], v[16:17] op_sel:[0,0,1] op_sel_hi:[1,1,0] neg_lo:[0,0,1] neg_hi:[0,0,1]
	v_pk_fma_f32 v[26:27], v[26:27], v[80:81], v[16:17] op_sel:[0,0,1] op_sel_hi:[1,0,0]
	ds_read2_b64 v[16:19], v96 offset0:96 offset1:196
	v_mov_b32_e32 v2, v85
	v_pk_fma_f32 v[144:145], v[28:29], v[82:83], v[30:31] op_sel:[0,0,1] op_sel_hi:[1,1,0] neg_lo:[0,0,1] neg_hi:[0,0,1]
	v_pk_fma_f32 v[82:83], v[28:29], v[82:83], v[30:31] op_sel:[0,0,1] op_sel_hi:[1,0,0]
	ds_read2_b64 v[78:81], v100 offset0:40 offset1:140
	s_waitcnt lgkmcnt(1)
	v_pk_mul_f32 v[28:29], v[16:17], v[2:3] op_sel_hi:[1,0]
	s_waitcnt vmcnt(0)
	v_mov_b32_e32 v2, v89
	v_pk_fma_f32 v[146:147], v[16:17], v[84:85], v[28:29] op_sel:[0,0,1] op_sel_hi:[1,1,0] neg_lo:[0,0,1] neg_hi:[0,0,1]
	v_pk_fma_f32 v[84:85], v[16:17], v[84:85], v[28:29] op_sel:[0,0,1] op_sel_hi:[1,0,0]
	ds_read2_b64 v[28:31], v99 offset0:152 offset1:252
	v_pk_mul_f32 v[16:17], v[18:19], v[2:3] op_sel_hi:[1,0]
	v_mov_b32_e32 v2, v107
	v_pk_fma_f32 v[148:149], v[18:19], v[88:89], v[16:17] op_sel:[0,0,1] op_sel_hi:[1,1,0] neg_lo:[0,0,1] neg_hi:[0,0,1]
	v_pk_fma_f32 v[88:89], v[18:19], v[88:89], v[16:17] op_sel:[0,0,1] op_sel_hi:[1,0,0]
	s_waitcnt lgkmcnt(0)
	v_pk_mul_f32 v[16:17], v[28:29], v[86:87] op_sel:[0,1]
	v_pk_mul_f32 v[18:19], v[30:31], v[104:105] op_sel:[0,1]
	v_pk_fma_f32 v[150:151], v[28:29], v[86:87], v[16:17] op_sel:[0,0,1] op_sel_hi:[1,1,0] neg_lo:[0,0,1] neg_hi:[0,0,1]
	v_pk_fma_f32 v[86:87], v[28:29], v[86:87], v[16:17] op_sel:[0,0,1] op_sel_hi:[1,0,0]
	v_pk_fma_f32 v[16:17], v[30:31], v[104:105], v[18:19] op_sel:[0,0,1] op_sel_hi:[1,1,0] neg_lo:[0,0,1] neg_hi:[0,0,1]
	v_pk_fma_f32 v[28:29], v[30:31], v[104:105], v[18:19] op_sel:[0,0,1] op_sel_hi:[1,0,0]
	v_pk_mul_f32 v[30:31], v[78:79], v[2:3] op_sel_hi:[1,0]
	v_mov_b32_e32 v147, v85
	v_pk_fma_f32 v[18:19], v[78:79], v[106:107], v[30:31] op_sel:[0,0,1] op_sel_hi:[1,1,0] neg_lo:[0,0,1] neg_hi:[0,0,1]
	v_pk_fma_f32 v[30:31], v[78:79], v[106:107], v[30:31] op_sel:[0,0,1] op_sel_hi:[1,0,0]
	v_pk_mul_f32 v[78:79], v[80:81], v[92:93] op_sel:[0,1]
	v_mov_b32_e32 v145, v83
	v_pk_fma_f32 v[104:105], v[80:81], v[92:93], v[78:79] op_sel:[0,0,1] op_sel_hi:[1,1,0] neg_lo:[0,0,1] neg_hi:[0,0,1]
	v_pk_fma_f32 v[78:79], v[80:81], v[92:93], v[78:79] op_sel:[0,0,1] op_sel_hi:[1,0,0]
	v_pk_add_f32 v[82:83], v[114:115], v[120:121] neg_lo:[0,1] neg_hi:[0,1]
	v_mov_b32_e32 v105, v79
	ds_read2_b64 v[78:81], v94 offset1:100
	v_pk_add_f32 v[84:85], v[146:147], v[132:133] neg_lo:[0,1] neg_hi:[0,1]
	v_pk_add_f32 v[92:93], v[114:115], v[146:147] neg_lo:[0,1] neg_hi:[0,1]
	v_pk_add_f32 v[82:83], v[82:83], v[84:85]
	v_pk_add_f32 v[84:85], v[120:121], v[132:133]
	v_pk_mul_f32 v[106:107], v[92:93], s[10:11] op_sel_hi:[1,0]
	s_waitcnt lgkmcnt(0)
	v_pk_fma_f32 v[84:85], v[84:85], 0.5, v[78:79] op_sel_hi:[1,0,1] neg_lo:[1,0,0] neg_hi:[1,0,0]
	v_mov_b32_e32 v129, v131
	v_pk_add_f32 v[108:109], v[84:85], v[106:107] op_sel:[0,1] op_sel_hi:[1,0]
	v_pk_add_f32 v[84:85], v[84:85], v[106:107] op_sel:[0,1] op_sel_hi:[1,0] neg_lo:[0,1] neg_hi:[0,1]
	v_pk_add_f32 v[106:107], v[120:121], v[132:133] neg_lo:[0,1] neg_hi:[0,1]
	v_pk_add_f32 v[116:117], v[104:105], v[144:145] neg_lo:[0,1] neg_hi:[0,1]
	v_pk_mul_f32 v[112:113], v[106:107], s[14:15] op_sel_hi:[1,0]
	v_pk_add_f32 v[122:123], v[118:119], v[104:105] neg_lo:[0,1] neg_hi:[0,1]
	v_pk_add_f32 v[84:85], v[84:85], v[112:113] op_sel:[0,1] op_sel_hi:[1,0] neg_lo:[0,1] neg_hi:[0,1]
	v_pk_add_f32 v[108:109], v[108:109], v[112:113] op_sel:[0,1] op_sel_hi:[1,0]
	v_pk_add_f32 v[112:113], v[118:119], v[128:129] neg_lo:[0,1] neg_hi:[0,1]
	v_pk_mul_f32 v[130:131], v[122:123], s[10:11] op_sel_hi:[1,0]
	v_pk_add_f32 v[112:113], v[112:113], v[116:117]
	v_pk_add_f32 v[116:117], v[128:129], v[144:145]
	v_pk_mul_f32 v[106:107], v[106:107], s[10:11] op_sel_hi:[1,0]
	v_pk_fma_f32 v[116:117], v[116:117], 0.5, v[110:111] op_sel_hi:[1,0,1] neg_lo:[1,0,0] neg_hi:[1,0,0]
	v_pk_mul_f32 v[92:93], v[92:93], s[14:15] op_sel_hi:[1,0]
	v_pk_add_f32 v[134:135], v[116:117], v[130:131] op_sel:[0,1] op_sel_hi:[1,0]
	v_pk_add_f32 v[116:117], v[116:117], v[130:131] op_sel:[0,1] op_sel_hi:[1,0] neg_lo:[0,1] neg_hi:[0,1]
	v_pk_add_f32 v[130:131], v[128:129], v[144:145] neg_lo:[0,1] neg_hi:[0,1]
	v_lshlrev_b32_sdwa v2, v54, v91 dst_sel:DWORD dst_unused:UNUSED_PAD src0_sel:DWORD src1_sel:BYTE_0
	v_pk_mul_f32 v[152:153], v[130:131], s[14:15] op_sel_hi:[1,0]
	v_mov_b32_e32 v158, v108
	v_pk_add_f32 v[116:117], v[116:117], v[152:153] op_sel:[0,1] op_sel_hi:[1,0] neg_lo:[0,1] neg_hi:[0,1]
	v_pk_add_f32 v[134:135], v[134:135], v[152:153] op_sel:[0,1] op_sel_hi:[1,0]
	v_mov_b32_e32 v153, v117
	v_mov_b32_e32 v152, v134
	v_pk_fma_f32 v[152:153], v[112:113], s[12:13], v[152:153] op_sel_hi:[1,0,1]
	v_mov_b32_e32 v159, v85
	v_pk_mul_f32 v[154:155], v[152:153], s[14:15] op_sel_hi:[1,0]
	v_mov_b32_e32 v85, v109
	v_pk_fma_f32 v[156:157], v[152:153], s[4:5], v[154:155] op_sel:[0,0,1] op_sel_hi:[1,0,0]
	v_pk_fma_f32 v[152:153], v[152:153], s[4:5], v[154:155] op_sel:[0,0,1] op_sel_hi:[1,0,0] neg_lo:[0,0,1] neg_hi:[0,0,1]
	v_pk_add_f32 v[154:155], v[110:111], v[118:119]
	v_mov_b32_e32 v157, v153
	v_pk_add_f32 v[152:153], v[78:79], v[114:115]
	v_pk_add_f32 v[154:155], v[154:155], v[128:129]
	;; [unrolled: 1-line block ×3, first 2 shown]
	v_pk_add_f32 v[120:121], v[120:121], v[114:115] neg_lo:[0,1] neg_hi:[0,1]
	v_pk_add_f32 v[152:153], v[152:153], v[132:133]
	v_pk_add_f32 v[114:115], v[114:115], v[146:147]
	v_pk_add_f32 v[132:133], v[132:133], v[146:147] neg_lo:[0,1] neg_hi:[0,1]
	v_pk_fma_f32 v[78:79], v[114:115], 0.5, v[78:79] op_sel_hi:[1,0,1] neg_lo:[1,0,0] neg_hi:[1,0,0]
	v_pk_add_f32 v[120:121], v[120:121], v[132:133]
	v_pk_add_f32 v[132:133], v[118:119], v[104:105]
	v_pk_add_f32 v[114:115], v[78:79], v[106:107] op_sel:[0,1] op_sel_hi:[1,0] neg_lo:[0,1] neg_hi:[0,1]
	v_pk_fma_f32 v[110:111], v[132:133], 0.5, v[110:111] op_sel_hi:[1,0,1] neg_lo:[1,0,0] neg_hi:[1,0,0]
	v_pk_add_f32 v[78:79], v[78:79], v[106:107] op_sel:[0,1] op_sel_hi:[1,0]
	v_pk_mul_f32 v[106:107], v[130:131], s[10:11] op_sel_hi:[1,0]
	v_pk_add_f32 v[154:155], v[154:155], v[144:145]
	v_pk_add_f32 v[78:79], v[78:79], v[92:93] op_sel:[0,1] op_sel_hi:[1,0] neg_lo:[0,1] neg_hi:[0,1]
	v_pk_add_f32 v[92:93], v[114:115], v[92:93] op_sel:[0,1] op_sel_hi:[1,0]
	v_pk_add_f32 v[114:115], v[110:111], v[106:107] op_sel:[0,1] op_sel_hi:[1,0] neg_lo:[0,1] neg_hi:[0,1]
	v_pk_add_f32 v[106:107], v[110:111], v[106:107] op_sel:[0,1] op_sel_hi:[1,0]
	v_pk_mul_f32 v[110:111], v[122:123], s[14:15] op_sel_hi:[1,0]
	v_pk_add_f32 v[154:155], v[154:155], v[104:105]
	v_pk_add_f32 v[118:119], v[128:129], v[118:119] neg_lo:[0,1] neg_hi:[0,1]
	v_pk_add_f32 v[104:105], v[144:145], v[104:105] neg_lo:[0,1] neg_hi:[0,1]
	v_pk_add_f32 v[106:107], v[106:107], v[110:111] op_sel:[0,1] op_sel_hi:[1,0] neg_lo:[0,1] neg_hi:[0,1]
	v_pk_add_f32 v[110:111], v[114:115], v[110:111] op_sel:[0,1] op_sel_hi:[1,0]
	v_pk_add_f32 v[104:105], v[118:119], v[104:105]
	v_mov_b32_e32 v114, v110
	v_mov_b32_e32 v115, v107
	v_pk_fma_f32 v[114:115], v[104:105], s[12:13], v[114:115] op_sel_hi:[1,0,1]
	v_mov_b32_e32 v107, v111
	v_pk_mul_f32 v[118:119], v[114:115], s[10:11] op_sel_hi:[1,0]
	v_pk_fma_f32 v[104:105], v[104:105], s[12:13], v[106:107] op_sel_hi:[1,0,1]
	v_pk_fma_f32 v[122:123], v[114:115], s[12:13], v[118:119] op_sel:[0,0,1] op_sel_hi:[1,0,0]
	v_pk_fma_f32 v[114:115], v[114:115], s[12:13], v[118:119] op_sel:[0,0,1] op_sel_hi:[1,0,0] neg_lo:[0,0,1] neg_hi:[0,0,1]
	v_pk_mul_f32 v[106:107], v[104:105], s[12:13] op_sel_hi:[1,0]
	v_mov_b32_e32 v123, v115
	v_mov_b32_e32 v114, v92
	;; [unrolled: 1-line block ×4, first 2 shown]
	v_pk_fma_f32 v[92:93], v[120:121], s[12:13], v[114:115] op_sel_hi:[1,0,1]
	v_pk_fma_f32 v[78:79], v[120:121], s[12:13], v[78:79] op_sel_hi:[1,0,1]
	v_pk_fma_f32 v[104:105], v[104:105], s[16:17], v[106:107] op_sel:[0,0,1] op_sel_hi:[1,1,0] neg_lo:[0,0,1] neg_hi:[0,0,1]
	v_mov_b32_e32 v117, v135
	v_add3_u32 v1, 0, v1, v2
	v_pk_fma_f32 v[158:159], v[82:83], s[12:13], v[158:159] op_sel_hi:[1,0,1]
	v_pk_add_f32 v[106:107], v[92:93], v[122:123]
	v_pk_add_f32 v[110:111], v[78:79], v[104:105] op_sel:[0,1] op_sel_hi:[1,0]
	v_pk_fma_f32 v[82:83], v[82:83], s[12:13], v[84:85] op_sel_hi:[1,0,1]
	v_pk_fma_f32 v[84:85], v[112:113], s[12:13], v[116:117] op_sel_hi:[1,0,1]
	s_barrier
	ds_write2_b64 v1, v[106:107], v[110:111] offset0:60 offset1:90
	v_pk_mul_f32 v[106:107], v[84:85], s[4:5] op_sel_hi:[1,0]
	v_pk_add_f32 v[152:153], v[152:153], v[146:147]
	v_pk_fma_f32 v[84:85], v[84:85], s[18:19], v[106:107] op_sel:[0,0,1] op_sel_hi:[1,1,0] neg_lo:[0,0,1] neg_hi:[0,0,1]
	v_pk_add_f32 v[106:107], v[152:153], v[154:155] neg_lo:[0,1] neg_hi:[0,1]
	v_pk_add_f32 v[108:109], v[82:83], v[84:85] op_sel:[0,1] op_sel_hi:[1,0]
	v_mov_b32_e32 v41, v47
	v_mov_b32_e32 v53, v125
	;; [unrolled: 1-line block ×4, first 2 shown]
	v_pk_add_f32 v[160:161], v[152:153], v[154:155]
	v_pk_add_f32 v[162:163], v[158:159], v[156:157]
	ds_write2_b64 v1, v[108:109], v[106:107] offset0:120 offset1:150
	v_pk_add_f32 v[106:107], v[158:159], v[156:157] neg_lo:[0,1] neg_hi:[0,1]
	v_pk_add_f32 v[92:93], v[92:93], v[122:123] neg_lo:[0,1] neg_hi:[0,1]
	;; [unrolled: 1-line block ×4, first 2 shown]
	ds_write2_b64 v1, v[160:161], v[162:163] offset1:30
	ds_write2_b64 v1, v[106:107], v[92:93] offset0:180 offset1:210
	v_pk_add_f32 v[78:79], v[78:79], v[104:105] op_sel:[0,1] op_sel_hi:[1,0] neg_lo:[0,1] neg_hi:[0,1]
	v_pk_add_f32 v[82:83], v[82:83], v[84:85] op_sel:[0,1] op_sel_hi:[1,0] neg_lo:[0,1] neg_hi:[0,1]
	v_add_u32_e32 v1, 0x400, v1
	v_mov_b32_e32 v43, v49
	v_pk_add_f32 v[44:45], v[44:45], v[46:47]
	v_pk_add_f32 v[46:47], v[52:53], v[136:137]
	v_pk_add_f32 v[48:49], v[40:41], v[148:149] neg_lo:[0,1] neg_hi:[0,1]
	ds_write2_b64 v1, v[78:79], v[82:83] offset0:112 offset1:142
	v_pk_fma_f32 v[46:47], v[46:47], 0.5, v[80:81] op_sel_hi:[1,0,1] neg_lo:[1,0,0] neg_hi:[1,0,0]
	v_pk_mul_f32 v[78:79], v[48:49], s[10:11] op_sel_hi:[1,0]
	v_mov_b32_e32 v51, v127
	v_pk_add_f32 v[82:83], v[46:47], v[78:79] op_sel:[0,1] op_sel_hi:[1,0]
	v_pk_add_f32 v[46:47], v[46:47], v[78:79] op_sel:[0,1] op_sel_hi:[1,0] neg_lo:[0,1] neg_hi:[0,1]
	v_pk_add_f32 v[78:79], v[52:53], v[136:137] neg_lo:[0,1] neg_hi:[0,1]
	v_mov_b32_e32 v141, v143
	v_mov_b32_e32 v151, v87
	v_pk_mul_f32 v[84:85], v[78:79], s[14:15] op_sel_hi:[1,0]
	v_pk_add_f32 v[86:87], v[42:43], v[150:151] neg_lo:[0,1] neg_hi:[0,1]
	v_pk_add_f32 v[46:47], v[46:47], v[84:85] op_sel:[0,1] op_sel_hi:[1,0] neg_lo:[0,1] neg_hi:[0,1]
	v_pk_add_f32 v[82:83], v[82:83], v[84:85] op_sel:[0,1] op_sel_hi:[1,0]
	v_pk_add_f32 v[84:85], v[50:51], v[140:141] neg_lo:[0,1] neg_hi:[0,1]
	v_pk_add_f32 v[88:89], v[50:51], v[42:43] neg_lo:[0,1] neg_hi:[0,1]
	v_pk_add_f32 v[84:85], v[84:85], v[86:87]
	v_pk_add_f32 v[86:87], v[140:141], v[150:151]
	v_pk_mul_f32 v[92:93], v[88:89], s[10:11] op_sel_hi:[1,0]
	v_pk_fma_f32 v[86:87], v[86:87], 0.5, v[38:39] op_sel_hi:[1,0,1] neg_lo:[1,0,0] neg_hi:[1,0,0]
	v_mov_b32_e32 v112, v82
	v_pk_add_f32 v[104:105], v[86:87], v[92:93] op_sel:[0,1] op_sel_hi:[1,0]
	v_pk_add_f32 v[86:87], v[86:87], v[92:93] op_sel:[0,1] op_sel_hi:[1,0] neg_lo:[0,1] neg_hi:[0,1]
	v_pk_add_f32 v[92:93], v[140:141], v[150:151] neg_lo:[0,1] neg_hi:[0,1]
	v_mov_b32_e32 v113, v47
	v_pk_mul_f32 v[106:107], v[92:93], s[14:15] op_sel_hi:[1,0]
	v_lshlrev_b32_sdwa v1, v54, v70 dst_sel:DWORD dst_unused:UNUSED_PAD src0_sel:DWORD src1_sel:BYTE_0
	v_pk_add_f32 v[86:87], v[86:87], v[106:107] op_sel:[0,1] op_sel_hi:[1,0] neg_lo:[0,1] neg_hi:[0,1]
	v_pk_add_f32 v[104:105], v[104:105], v[106:107] op_sel:[0,1] op_sel_hi:[1,0]
	v_mov_b32_e32 v107, v87
	v_mov_b32_e32 v106, v104
	v_pk_fma_f32 v[106:107], v[84:85], s[12:13], v[106:107] op_sel_hi:[1,0,1]
	v_mul_u32_u24_e32 v2, 0x960, v68
	v_pk_mul_f32 v[108:109], v[106:107], s[14:15] op_sel_hi:[1,0]
	v_pk_fma_f32 v[112:113], v[44:45], s[12:13], v[112:113] op_sel_hi:[1,0,1]
	v_pk_fma_f32 v[110:111], v[106:107], s[4:5], v[108:109] op_sel:[0,0,1] op_sel_hi:[1,0,0]
	v_pk_fma_f32 v[106:107], v[106:107], s[4:5], v[108:109] op_sel:[0,0,1] op_sel_hi:[1,0,0] neg_lo:[0,0,1] neg_hi:[0,0,1]
	v_pk_add_f32 v[108:109], v[38:39], v[50:51]
	v_mov_b32_e32 v111, v107
	v_pk_add_f32 v[106:107], v[80:81], v[40:41]
	v_pk_add_f32 v[108:109], v[108:109], v[140:141]
	;; [unrolled: 1-line block ×7, first 2 shown]
	v_add3_u32 v20, 0, v2, v1
	v_pk_add_f32 v[114:115], v[106:107], v[108:109]
	v_pk_add_f32 v[116:117], v[112:113], v[110:111]
	ds_write2_b64 v20, v[114:115], v[116:117] offset1:30
	v_pk_add_f32 v[114:115], v[40:41], v[148:149]
	v_pk_add_f32 v[40:41], v[52:53], v[40:41] neg_lo:[0,1] neg_hi:[0,1]
	v_pk_add_f32 v[52:53], v[136:137], v[148:149] neg_lo:[0,1] neg_hi:[0,1]
	v_pk_fma_f32 v[80:81], v[114:115], 0.5, v[80:81] op_sel_hi:[1,0,1] neg_lo:[1,0,0] neg_hi:[1,0,0]
	v_pk_add_f32 v[40:41], v[40:41], v[52:53]
	v_pk_add_f32 v[52:53], v[50:51], v[42:43]
	v_pk_add_f32 v[50:51], v[140:141], v[50:51] neg_lo:[0,1] neg_hi:[0,1]
	v_pk_add_f32 v[42:43], v[150:151], v[42:43] neg_lo:[0,1] neg_hi:[0,1]
	v_pk_fma_f32 v[38:39], v[52:53], 0.5, v[38:39] op_sel_hi:[1,0,1] neg_lo:[1,0,0] neg_hi:[1,0,0]
	v_pk_add_f32 v[42:43], v[50:51], v[42:43]
	v_pk_mul_f32 v[50:51], v[78:79], s[10:11] op_sel_hi:[1,0]
	v_pk_mul_f32 v[48:49], v[48:49], s[14:15] op_sel_hi:[1,0]
	v_pk_add_f32 v[52:53], v[80:81], v[50:51] op_sel:[0,1] op_sel_hi:[1,0] neg_lo:[0,1] neg_hi:[0,1]
	v_pk_add_f32 v[50:51], v[80:81], v[50:51] op_sel:[0,1] op_sel_hi:[1,0]
	v_mov_b32_e32 v47, v83
	v_pk_add_f32 v[50:51], v[50:51], v[48:49] op_sel:[0,1] op_sel_hi:[1,0] neg_lo:[0,1] neg_hi:[0,1]
	v_pk_add_f32 v[48:49], v[52:53], v[48:49] op_sel:[0,1] op_sel_hi:[1,0]
	v_pk_mul_f32 v[52:53], v[92:93], s[10:11] op_sel_hi:[1,0]
	v_mov_b32_e32 v87, v105
	v_pk_add_f32 v[78:79], v[38:39], v[52:53] op_sel:[0,1] op_sel_hi:[1,0] neg_lo:[0,1] neg_hi:[0,1]
	v_pk_add_f32 v[38:39], v[38:39], v[52:53] op_sel:[0,1] op_sel_hi:[1,0]
	v_pk_mul_f32 v[52:53], v[88:89], s[14:15] op_sel_hi:[1,0]
	v_mov_b32_e32 v1, v3
	v_pk_add_f32 v[38:39], v[38:39], v[52:53] op_sel:[0,1] op_sel_hi:[1,0] neg_lo:[0,1] neg_hi:[0,1]
	v_pk_add_f32 v[52:53], v[78:79], v[52:53] op_sel:[0,1] op_sel_hi:[1,0]
	v_mov_b32_e32 v79, v39
	v_mov_b32_e32 v78, v52
	v_pk_fma_f32 v[78:79], v[42:43], s[12:13], v[78:79] op_sel_hi:[1,0,1]
	v_mov_b32_e32 v39, v53
	v_pk_mul_f32 v[80:81], v[78:79], s[10:11] op_sel_hi:[1,0]
	v_pk_fma_f32 v[38:39], v[42:43], s[12:13], v[38:39] op_sel_hi:[1,0,1]
	v_pk_fma_f32 v[88:89], v[78:79], s[12:13], v[80:81] op_sel:[0,0,1] op_sel_hi:[1,0,0]
	v_pk_fma_f32 v[78:79], v[78:79], s[12:13], v[80:81] op_sel:[0,0,1] op_sel_hi:[1,0,0] neg_lo:[0,0,1] neg_hi:[0,0,1]
	v_pk_mul_f32 v[42:43], v[38:39], s[12:13] op_sel_hi:[1,0]
	v_mov_b32_e32 v89, v79
	v_mov_b32_e32 v78, v48
	;; [unrolled: 1-line block ×4, first 2 shown]
	v_pk_fma_f32 v[48:49], v[40:41], s[12:13], v[78:79] op_sel_hi:[1,0,1]
	v_pk_fma_f32 v[40:41], v[40:41], s[12:13], v[50:51] op_sel_hi:[1,0,1]
	v_pk_fma_f32 v[38:39], v[38:39], s[16:17], v[42:43] op_sel:[0,0,1] op_sel_hi:[1,1,0] neg_lo:[0,0,1] neg_hi:[0,0,1]
	v_pk_add_f32 v[42:43], v[48:49], v[88:89]
	v_pk_add_f32 v[50:51], v[40:41], v[38:39] op_sel:[0,1] op_sel_hi:[1,0]
	ds_write2_b64 v20, v[42:43], v[50:51] offset0:60 offset1:90
	v_pk_fma_f32 v[42:43], v[44:45], s[12:13], v[46:47] op_sel_hi:[1,0,1]
	v_pk_fma_f32 v[44:45], v[84:85], s[12:13], v[86:87] op_sel_hi:[1,0,1]
	v_pk_add_f32 v[2:3], v[112:113], v[110:111] neg_lo:[0,1] neg_hi:[0,1]
	v_pk_mul_f32 v[46:47], v[44:45], s[4:5] op_sel_hi:[1,0]
	v_pk_add_f32 v[6:7], v[48:49], v[88:89] neg_lo:[0,1] neg_hi:[0,1]
	v_pk_fma_f32 v[44:45], v[44:45], s[18:19], v[46:47] op_sel:[0,0,1] op_sel_hi:[1,1,0] neg_lo:[0,0,1] neg_hi:[0,0,1]
	v_pk_add_f32 v[46:47], v[106:107], v[108:109] neg_lo:[0,1] neg_hi:[0,1]
	v_pk_add_f32 v[50:51], v[42:43], v[44:45] op_sel:[0,1] op_sel_hi:[1,0]
	ds_write2_b64 v20, v[50:51], v[46:47] offset0:120 offset1:150
	v_mov_b32_e32 v11, v23
	v_mov_b32_e32 v15, v27
	;; [unrolled: 1-line block ×3, first 2 shown]
	ds_write2_b64 v20, v[2:3], v[6:7] offset0:180 offset1:210
	v_pk_add_f32 v[2:3], v[40:41], v[38:39] op_sel:[0,1] op_sel_hi:[1,0] neg_lo:[0,1] neg_hi:[0,1]
	v_pk_add_f32 v[6:7], v[42:43], v[44:45] op_sel:[0,1] op_sel_hi:[1,0] neg_lo:[0,1] neg_hi:[0,1]
	v_add_u32_e32 v20, 0x400, v20
	ds_write2_b64 v20, v[2:3], v[6:7] offset0:112 offset1:142
	v_pk_add_f32 v[2:3], v[10:11], v[14:15]
	v_pk_add_f32 v[6:7], v[4:5], v[18:19] neg_lo:[0,1] neg_hi:[0,1]
	v_mov_b32_e32 v9, v21
	v_mov_b32_e32 v17, v29
	v_pk_fma_f32 v[2:3], v[2:3], 0.5, v[36:37] op_sel_hi:[1,0,1] neg_lo:[1,0,0] neg_hi:[1,0,0]
	v_pk_mul_f32 v[20:21], v[6:7], s[10:11] op_sel_hi:[1,0]
	v_pk_add_f32 v[22:23], v[10:11], v[14:15] neg_lo:[0,1] neg_hi:[0,1]
	v_pk_add_f32 v[26:27], v[4:5], v[10:11] neg_lo:[0,1] neg_hi:[0,1]
	;; [unrolled: 1-line block ×3, first 2 shown]
	v_mov_b32_e32 v13, v25
	v_pk_mul_f32 v[24:25], v[22:23], s[14:15] op_sel_hi:[1,0]
	v_pk_add_f32 v[26:27], v[26:27], v[28:29]
	v_pk_add_f32 v[28:29], v[2:3], v[20:21] op_sel:[0,1] op_sel_hi:[1,0]
	v_pk_add_f32 v[2:3], v[2:3], v[20:21] op_sel:[0,1] op_sel_hi:[1,0] neg_lo:[0,1] neg_hi:[0,1]
	v_pk_add_f32 v[20:21], v[28:29], v[24:25] op_sel:[0,1] op_sel_hi:[1,0]
	v_pk_add_f32 v[2:3], v[2:3], v[24:25] op_sel:[0,1] op_sel_hi:[1,0] neg_lo:[0,1] neg_hi:[0,1]
	v_pk_add_f32 v[24:25], v[8:9], v[12:13] neg_lo:[0,1] neg_hi:[0,1]
	v_pk_add_f32 v[28:29], v[0:1], v[16:17] neg_lo:[0,1] neg_hi:[0,1]
	;; [unrolled: 1-line block ×3, first 2 shown]
	v_pk_add_f32 v[24:25], v[24:25], v[28:29]
	v_pk_add_f32 v[28:29], v[12:13], v[16:17]
	v_pk_mul_f32 v[34:35], v[30:31], s[10:11] op_sel_hi:[1,0]
	v_pk_fma_f32 v[28:29], v[28:29], 0.5, v[32:33] op_sel_hi:[1,0,1] neg_lo:[1,0,0] neg_hi:[1,0,0]
	v_mov_b32_e32 v46, v20
	v_pk_add_f32 v[38:39], v[28:29], v[34:35] op_sel:[0,1] op_sel_hi:[1,0]
	v_pk_add_f32 v[28:29], v[28:29], v[34:35] op_sel:[0,1] op_sel_hi:[1,0] neg_lo:[0,1] neg_hi:[0,1]
	v_pk_add_f32 v[34:35], v[12:13], v[16:17] neg_lo:[0,1] neg_hi:[0,1]
	v_mov_b32_e32 v47, v3
	v_pk_mul_f32 v[40:41], v[34:35], s[14:15] op_sel_hi:[1,0]
	v_pk_fma_f32 v[46:47], v[26:27], s[12:13], v[46:47] op_sel_hi:[1,0,1]
	v_pk_add_f32 v[28:29], v[28:29], v[40:41] op_sel:[0,1] op_sel_hi:[1,0] neg_lo:[0,1] neg_hi:[0,1]
	v_pk_add_f32 v[38:39], v[38:39], v[40:41] op_sel:[0,1] op_sel_hi:[1,0]
	v_mov_b32_e32 v41, v29
	v_mov_b32_e32 v40, v38
	v_pk_fma_f32 v[40:41], v[24:25], s[12:13], v[40:41] op_sel_hi:[1,0,1]
	v_mul_u32_u24_e32 v29, 0x960, v64
	v_pk_mul_f32 v[42:43], v[40:41], s[14:15] op_sel_hi:[1,0]
	v_lshlrev_b32_e32 v38, 3, v66
	v_pk_fma_f32 v[44:45], v[40:41], s[4:5], v[42:43] op_sel:[0,0,1] op_sel_hi:[1,0,0]
	v_pk_fma_f32 v[40:41], v[40:41], s[4:5], v[42:43] op_sel:[0,0,1] op_sel_hi:[1,0,0] neg_lo:[0,0,1] neg_hi:[0,0,1]
	v_pk_add_f32 v[42:43], v[32:33], v[8:9]
	v_mov_b32_e32 v45, v41
	v_pk_add_f32 v[40:41], v[36:37], v[4:5]
	v_pk_add_f32 v[42:43], v[42:43], v[12:13]
	;; [unrolled: 1-line block ×7, first 2 shown]
	v_add3_u32 v38, 0, v29, v38
	v_pk_add_f32 v[48:49], v[40:41], v[42:43]
	v_pk_add_f32 v[50:51], v[46:47], v[44:45]
	ds_write2_b64 v38, v[48:49], v[50:51] offset1:30
	v_pk_add_f32 v[48:49], v[4:5], v[18:19]
	v_pk_add_f32 v[4:5], v[10:11], v[4:5] neg_lo:[0,1] neg_hi:[0,1]
	v_pk_add_f32 v[10:11], v[14:15], v[18:19] neg_lo:[0,1] neg_hi:[0,1]
	v_pk_fma_f32 v[36:37], v[48:49], 0.5, v[36:37] op_sel_hi:[1,0,1] neg_lo:[1,0,0] neg_hi:[1,0,0]
	v_pk_add_f32 v[4:5], v[4:5], v[10:11]
	v_pk_add_f32 v[10:11], v[8:9], v[0:1]
	v_pk_add_f32 v[8:9], v[12:13], v[8:9] neg_lo:[0,1] neg_hi:[0,1]
	v_pk_add_f32 v[0:1], v[16:17], v[0:1] neg_lo:[0,1] neg_hi:[0,1]
	v_pk_mul_f32 v[6:7], v[6:7], s[14:15] op_sel_hi:[1,0]
	v_pk_add_f32 v[0:1], v[8:9], v[0:1]
	v_pk_mul_f32 v[8:9], v[22:23], s[10:11] op_sel_hi:[1,0]
	v_pk_fma_f32 v[10:11], v[10:11], 0.5, v[32:33] op_sel_hi:[1,0,1] neg_lo:[1,0,0] neg_hi:[1,0,0]
	v_pk_add_f32 v[12:13], v[36:37], v[8:9] op_sel:[0,1] op_sel_hi:[1,0] neg_lo:[0,1] neg_hi:[0,1]
	v_pk_add_f32 v[8:9], v[36:37], v[8:9] op_sel:[0,1] op_sel_hi:[1,0]
	v_mov_b32_e32 v29, v39
	v_pk_add_f32 v[8:9], v[8:9], v[6:7] op_sel:[0,1] op_sel_hi:[1,0] neg_lo:[0,1] neg_hi:[0,1]
	v_pk_add_f32 v[6:7], v[12:13], v[6:7] op_sel:[0,1] op_sel_hi:[1,0]
	v_pk_mul_f32 v[12:13], v[34:35], s[10:11] op_sel_hi:[1,0]
	v_mov_b32_e32 v3, v21
	v_pk_add_f32 v[14:15], v[10:11], v[12:13] op_sel:[0,1] op_sel_hi:[1,0] neg_lo:[0,1] neg_hi:[0,1]
	v_pk_add_f32 v[10:11], v[10:11], v[12:13] op_sel:[0,1] op_sel_hi:[1,0]
	v_pk_mul_f32 v[12:13], v[30:31], s[14:15] op_sel_hi:[1,0]
	v_pk_fma_f32 v[2:3], v[26:27], s[12:13], v[2:3] op_sel_hi:[1,0,1]
	v_pk_add_f32 v[10:11], v[10:11], v[12:13] op_sel:[0,1] op_sel_hi:[1,0] neg_lo:[0,1] neg_hi:[0,1]
	v_pk_add_f32 v[12:13], v[14:15], v[12:13] op_sel:[0,1] op_sel_hi:[1,0]
	v_mov_b32_e32 v15, v11
	v_mov_b32_e32 v14, v12
	v_pk_fma_f32 v[14:15], v[0:1], s[12:13], v[14:15] op_sel_hi:[1,0,1]
	v_mov_b32_e32 v11, v13
	v_pk_mul_f32 v[16:17], v[14:15], s[10:11] op_sel_hi:[1,0]
	v_pk_fma_f32 v[0:1], v[0:1], s[12:13], v[10:11] op_sel_hi:[1,0,1]
	v_pk_fma_f32 v[18:19], v[14:15], s[12:13], v[16:17] op_sel:[0,0,1] op_sel_hi:[1,0,0]
	v_pk_fma_f32 v[14:15], v[14:15], s[12:13], v[16:17] op_sel:[0,0,1] op_sel_hi:[1,0,0] neg_lo:[0,0,1] neg_hi:[0,0,1]
	v_pk_mul_f32 v[10:11], v[0:1], s[12:13] op_sel_hi:[1,0]
	v_mov_b32_e32 v19, v15
	v_mov_b32_e32 v14, v6
	;; [unrolled: 1-line block ×4, first 2 shown]
	v_pk_fma_f32 v[6:7], v[4:5], s[12:13], v[14:15] op_sel_hi:[1,0,1]
	v_pk_fma_f32 v[4:5], v[4:5], s[12:13], v[8:9] op_sel_hi:[1,0,1]
	v_pk_fma_f32 v[0:1], v[0:1], s[16:17], v[10:11] op_sel:[0,0,1] op_sel_hi:[1,1,0] neg_lo:[0,0,1] neg_hi:[0,0,1]
	v_pk_add_f32 v[8:9], v[6:7], v[18:19]
	v_pk_add_f32 v[10:11], v[4:5], v[0:1] op_sel:[0,1] op_sel_hi:[1,0]
	ds_write2_b64 v38, v[8:9], v[10:11] offset0:60 offset1:90
	v_pk_fma_f32 v[8:9], v[24:25], s[12:13], v[28:29] op_sel_hi:[1,0,1]
	v_pk_add_f32 v[0:1], v[4:5], v[0:1] op_sel:[0,1] op_sel_hi:[1,0] neg_lo:[0,1] neg_hi:[0,1]
	v_pk_mul_f32 v[10:11], v[8:9], s[4:5] op_sel_hi:[1,0]
	v_add_u32_e32 v4, 0x400, v38
	v_pk_fma_f32 v[8:9], v[8:9], s[18:19], v[10:11] op_sel:[0,0,1] op_sel_hi:[1,1,0] neg_lo:[0,0,1] neg_hi:[0,0,1]
	v_pk_add_f32 v[6:7], v[6:7], v[18:19] neg_lo:[0,1] neg_hi:[0,1]
	v_pk_add_f32 v[10:11], v[2:3], v[8:9] op_sel:[0,1] op_sel_hi:[1,0]
	v_pk_add_f32 v[2:3], v[2:3], v[8:9] op_sel:[0,1] op_sel_hi:[1,0] neg_lo:[0,1] neg_hi:[0,1]
	ds_write2_b64 v4, v[0:1], v[2:3] offset0:112 offset1:142
	v_mul_u32_u24_e32 v0, 9, v58
	v_lshlrev_b32_e32 v18, 3, v0
	v_mov_b32_e32 v19, v63
	v_pk_add_f32 v[12:13], v[40:41], v[42:43] neg_lo:[0,1] neg_hi:[0,1]
	v_lshl_add_u64 v[0:1], s[8:9], 0, v[18:19]
	ds_write2_b64 v38, v[10:11], v[12:13] offset0:120 offset1:150
	v_pk_add_f32 v[10:11], v[46:47], v[44:45] neg_lo:[0,1] neg_hi:[0,1]
	v_lshl_add_u64 v[16:17], v[0:1], 0, s[20:21]
	ds_write2_b64 v38, v[10:11], v[6:7] offset0:180 offset1:210
	s_waitcnt lgkmcnt(0)
	s_barrier
	global_load_dwordx4 v[8:11], v[16:17], off offset:2320
	v_mul_u32_u24_e32 v0, 9, v62
	v_lshlrev_b32_e32 v19, 3, v0
	global_load_dwordx4 v[4:7], v19, s[8:9] offset:2320
	global_load_dwordx4 v[0:3], v18, s[8:9] offset:2320
	;; [unrolled: 1-line block ×3, first 2 shown]
	global_load_dwordx4 v[26:29], v[16:17], off offset:2336
	global_load_dwordx4 v[30:33], v19, s[8:9] offset:2336
	global_load_dwordx4 v[34:37], v18, s[8:9] offset:2352
	global_load_dwordx4 v[38:41], v[16:17], off offset:2352
	global_load_dwordx4 v[80:83], v19, s[8:9] offset:2352
	global_load_dwordx4 v[86:89], v18, s[8:9] offset:2368
	;; [unrolled: 1-line block ×3, first 2 shown]
	ds_read2_b64 v[42:45], v102 offset0:144 offset1:244
	global_load_dwordx4 v[104:107], v[16:17], off offset:2368
	global_load_dwordx2 v[114:115], v[16:17], off offset:2384
	ds_read2_b64 v[46:49], v55 offset0:60 offset1:160
	ds_read_b64 v[52:53], v69
	s_waitcnt vmcnt(12) lgkmcnt(2)
	v_pk_mul_f32 v[14:15], v[42:43], v[8:9] op_sel:[0,1]
	s_nop 0
	v_pk_fma_f32 v[12:13], v[42:43], v[8:9], v[14:15] op_sel:[0,0,1] op_sel_hi:[1,1,0] neg_lo:[0,0,1] neg_hi:[0,0,1]
	v_pk_fma_f32 v[92:93], v[42:43], v[8:9], v[14:15] op_sel:[0,0,1] op_sel_hi:[1,0,0]
	v_mov_b32_e32 v8, v11
	s_waitcnt lgkmcnt(1)
	v_pk_mul_f32 v[8:9], v[46:47], v[8:9] op_sel_hi:[1,0]
	v_mov_b32_e32 v13, v93
	v_pk_fma_f32 v[14:15], v[46:47], v[10:11], v[8:9] op_sel:[0,0,1] op_sel_hi:[1,1,0] neg_lo:[0,0,1] neg_hi:[0,0,1]
	v_pk_fma_f32 v[112:113], v[46:47], v[10:11], v[8:9] op_sel:[0,0,1] op_sel_hi:[1,0,0]
	s_waitcnt vmcnt(11)
	v_pk_mul_f32 v[10:11], v[44:45], v[4:5] op_sel:[0,1]
	v_mov_b32_e32 v15, v113
	v_pk_fma_f32 v[8:9], v[44:45], v[4:5], v[10:11] op_sel:[0,0,1] op_sel_hi:[1,1,0] neg_lo:[0,0,1] neg_hi:[0,0,1]
	v_pk_fma_f32 v[16:17], v[44:45], v[4:5], v[10:11] op_sel:[0,0,1] op_sel_hi:[1,0,0]
	ds_read_b64 v[10:11], v67
	ds_read_b64 v[42:43], v65
	global_load_dwordx2 v[116:117], v18, s[8:9] offset:2384
	global_load_dwordx2 v[122:123], v19, s[8:9] offset:2384
	v_mov_b32_e32 v4, v7
	v_pk_mul_f32 v[20:21], v[48:49], v[4:5] op_sel_hi:[1,0]
	s_waitcnt vmcnt(12) lgkmcnt(0)
	v_pk_mul_f32 v[44:45], v[0:1], v[42:43] op_sel:[0,1]
	v_pk_fma_f32 v[4:5], v[48:49], v[6:7], v[20:21] op_sel:[0,0,1] op_sel_hi:[1,1,0] neg_lo:[0,0,1] neg_hi:[0,0,1]
	v_pk_fma_f32 v[46:47], v[0:1], v[42:43], v[44:45] op_sel:[0,0,1] op_sel_hi:[1,1,0] neg_lo:[0,0,1] neg_hi:[0,0,1]
	v_pk_fma_f32 v[118:119], v[0:1], v[42:43], v[44:45] op_sel:[0,0,1] op_sel_hi:[1,0,0]
	v_pk_mul_f32 v[0:1], v[2:3], v[10:11] op_sel:[0,1]
	v_pk_fma_f32 v[20:21], v[48:49], v[6:7], v[20:21] op_sel:[0,0,1] op_sel_hi:[1,0,0]
	v_pk_fma_f32 v[50:51], v[2:3], v[10:11], v[0:1] op_sel:[0,0,1] op_sel_hi:[1,1,0] neg_lo:[0,0,1] neg_hi:[0,0,1]
	v_pk_fma_f32 v[120:121], v[2:3], v[10:11], v[0:1] op_sel:[0,0,1] op_sel_hi:[1,0,0]
	ds_read2_b64 v[0:3], v97 offset0:48 offset1:148
	s_waitcnt vmcnt(11)
	v_pk_mul_f32 v[10:11], v[22:23], v[52:53] op_sel:[0,1]
	s_waitcnt vmcnt(6)
	v_mov_b32_e32 v16, v83
	v_pk_fma_f32 v[48:49], v[22:23], v[52:53], v[10:11] op_sel:[0,0,1] op_sel_hi:[1,1,0] neg_lo:[0,0,1] neg_hi:[0,0,1]
	v_pk_fma_f32 v[124:125], v[22:23], v[52:53], v[10:11] op_sel:[0,0,1] op_sel_hi:[1,0,0]
	v_mov_b32_e32 v10, v25
	s_waitcnt lgkmcnt(0)
	v_pk_mul_f32 v[10:11], v[0:1], v[10:11] op_sel_hi:[1,0]
	ds_read2_b64 v[52:55], v103 offset0:120 offset1:220
	v_pk_fma_f32 v[64:65], v[0:1], v[24:25], v[10:11] op_sel:[0,0,1] op_sel_hi:[1,1,0] neg_lo:[0,0,1] neg_hi:[0,0,1]
	v_pk_fma_f32 v[126:127], v[0:1], v[24:25], v[10:11] op_sel:[0,0,1] op_sel_hi:[1,0,0]
	ds_read2_b64 v[22:25], v75 offset0:104 offset1:204
	v_mov_b32_e32 v0, v29
	v_pk_mul_f32 v[0:1], v[2:3], v[0:1] op_sel_hi:[1,0]
	v_mov_b32_e32 v47, v119
	v_pk_fma_f32 v[44:45], v[2:3], v[28:29], v[0:1] op_sel:[0,0,1] op_sel_hi:[1,1,0] neg_lo:[0,0,1] neg_hi:[0,0,1]
	v_pk_fma_f32 v[128:129], v[2:3], v[28:29], v[0:1] op_sel:[0,0,1] op_sel_hi:[1,0,0]
	s_waitcnt lgkmcnt(0)
	v_pk_mul_f32 v[0:1], v[22:23], v[26:27] op_sel:[0,1]
	v_pk_mul_f32 v[2:3], v[24:25], v[30:31] op_sel:[0,1]
	v_pk_fma_f32 v[42:43], v[22:23], v[26:27], v[0:1] op_sel:[0,0,1] op_sel_hi:[1,1,0] neg_lo:[0,0,1] neg_hi:[0,0,1]
	v_pk_fma_f32 v[130:131], v[22:23], v[26:27], v[0:1] op_sel:[0,0,1] op_sel_hi:[1,0,0]
	v_pk_fma_f32 v[0:1], v[24:25], v[30:31], v[2:3] op_sel:[0,0,1] op_sel_hi:[1,1,0] neg_lo:[0,0,1] neg_hi:[0,0,1]
	v_pk_fma_f32 v[28:29], v[24:25], v[30:31], v[2:3] op_sel:[0,0,1] op_sel_hi:[1,0,0]
	ds_read2_b64 v[22:25], v95 offset0:8 offset1:108
	v_mov_b32_e32 v2, v33
	v_pk_mul_f32 v[10:11], v[52:53], v[2:3] op_sel_hi:[1,0]
	v_mov_b32_e32 v51, v121
	v_pk_fma_f32 v[2:3], v[52:53], v[32:33], v[10:11] op_sel:[0,0,1] op_sel_hi:[1,1,0] neg_lo:[0,0,1] neg_hi:[0,0,1]
	v_pk_fma_f32 v[30:31], v[52:53], v[32:33], v[10:11] op_sel:[0,0,1] op_sel_hi:[1,0,0]
	v_pk_mul_f32 v[10:11], v[54:55], v[34:35] op_sel:[0,1]
	v_mov_b32_e32 v49, v125
	v_pk_fma_f32 v[74:75], v[54:55], v[34:35], v[10:11] op_sel:[0,0,1] op_sel_hi:[1,1,0] neg_lo:[0,0,1] neg_hi:[0,0,1]
	v_pk_fma_f32 v[52:53], v[54:55], v[34:35], v[10:11] op_sel:[0,0,1] op_sel_hi:[1,0,0]
	v_mov_b32_e32 v10, v37
	ds_read2_b64 v[32:35], v71 offset0:64 offset1:164
	s_waitcnt lgkmcnt(1)
	v_pk_mul_f32 v[10:11], v[22:23], v[10:11] op_sel_hi:[1,0]
	ds_read2_b64 v[68:71], v73 offset0:112 offset1:212
	v_pk_fma_f32 v[78:79], v[22:23], v[36:37], v[10:11] op_sel:[0,0,1] op_sel_hi:[1,1,0] neg_lo:[0,0,1] neg_hi:[0,0,1]
	v_pk_fma_f32 v[132:133], v[22:23], v[36:37], v[10:11] op_sel:[0,0,1] op_sel_hi:[1,0,0]
	v_mov_b32_e32 v10, v41
	v_pk_mul_f32 v[10:11], v[24:25], v[10:11] op_sel_hi:[1,0]
	s_waitcnt lgkmcnt(1)
	v_pk_mul_f32 v[18:19], v[34:35], v[80:81] op_sel:[0,1]
	v_pk_fma_f32 v[66:67], v[24:25], v[40:41], v[10:11] op_sel:[0,0,1] op_sel_hi:[1,1,0] neg_lo:[0,0,1] neg_hi:[0,0,1]
	v_pk_fma_f32 v[134:135], v[24:25], v[40:41], v[10:11] op_sel:[0,0,1] op_sel_hi:[1,0,0]
	ds_read2_b64 v[22:25], v77 offset0:80 offset1:180
	v_pk_mul_f32 v[10:11], v[32:33], v[38:39] op_sel:[0,1]
	v_mov_b32_e32 v43, v131
	v_pk_fma_f32 v[54:55], v[32:33], v[38:39], v[10:11] op_sel:[0,0,1] op_sel_hi:[1,1,0] neg_lo:[0,0,1] neg_hi:[0,0,1]
	v_pk_fma_f32 v[136:137], v[32:33], v[38:39], v[10:11] op_sel:[0,0,1] op_sel_hi:[1,0,0]
	ds_read2_b64 v[36:39], v96 offset0:96 offset1:196
	s_waitcnt lgkmcnt(1)
	v_pk_mul_f32 v[26:27], v[22:23], v[16:17] op_sel_hi:[1,0]
	v_pk_fma_f32 v[10:11], v[34:35], v[80:81], v[18:19] op_sel:[0,0,1] op_sel_hi:[1,1,0] neg_lo:[0,0,1] neg_hi:[0,0,1]
	v_pk_fma_f32 v[32:33], v[34:35], v[80:81], v[18:19] op_sel:[0,0,1] op_sel_hi:[1,0,0]
	v_pk_fma_f32 v[18:19], v[22:23], v[82:83], v[26:27] op_sel:[0,0,1] op_sel_hi:[1,1,0] neg_lo:[0,0,1] neg_hi:[0,0,1]
	v_pk_fma_f32 v[34:35], v[22:23], v[82:83], v[26:27] op_sel:[0,0,1] op_sel_hi:[1,0,0]
	s_waitcnt vmcnt(5)
	v_pk_mul_f32 v[22:23], v[24:25], v[86:87] op_sel:[0,1]
	v_mov_b32_e32 v16, v89
	v_pk_fma_f32 v[84:85], v[24:25], v[86:87], v[22:23] op_sel:[0,0,1] op_sel_hi:[1,1,0] neg_lo:[0,0,1] neg_hi:[0,0,1]
	v_pk_fma_f32 v[138:139], v[24:25], v[86:87], v[22:23] op_sel:[0,0,1] op_sel_hi:[1,0,0]
	s_waitcnt lgkmcnt(0)
	v_pk_mul_f32 v[22:23], v[36:37], v[16:17] op_sel_hi:[1,0]
	s_waitcnt vmcnt(3)
	v_mov_b32_e32 v16, v107
	v_pk_fma_f32 v[86:87], v[36:37], v[88:89], v[22:23] op_sel:[0,0,1] op_sel_hi:[1,1,0] neg_lo:[0,0,1] neg_hi:[0,0,1]
	v_pk_fma_f32 v[140:141], v[36:37], v[88:89], v[22:23] op_sel:[0,0,1] op_sel_hi:[1,0,0]
	ds_read2_b64 v[22:25], v99 offset0:152 offset1:252
	v_pk_mul_f32 v[26:27], v[38:39], v[16:17] op_sel_hi:[1,0]
	v_mov_b32_e32 v16, v111
	v_pk_fma_f32 v[80:81], v[38:39], v[106:107], v[26:27] op_sel:[0,0,1] op_sel_hi:[1,1,0] neg_lo:[0,0,1] neg_hi:[0,0,1]
	v_pk_fma_f32 v[142:143], v[38:39], v[106:107], v[26:27] op_sel:[0,0,1] op_sel_hi:[1,0,0]
	ds_read2_b64 v[38:41], v100 offset0:40 offset1:140
	s_waitcnt lgkmcnt(1)
	v_pk_mul_f32 v[26:27], v[22:23], v[104:105] op_sel:[0,1]
	v_mov_b32_e32 v65, v127
	v_pk_fma_f32 v[76:77], v[22:23], v[104:105], v[26:27] op_sel:[0,0,1] op_sel_hi:[1,1,0] neg_lo:[0,0,1] neg_hi:[0,0,1]
	v_pk_fma_f32 v[144:145], v[22:23], v[104:105], v[26:27] op_sel:[0,0,1] op_sel_hi:[1,0,0]
	v_pk_mul_f32 v[26:27], v[24:25], v[108:109] op_sel:[0,1]
	ds_read2_b64 v[104:107], v94 offset1:100
	v_pk_fma_f32 v[22:23], v[24:25], v[108:109], v[26:27] op_sel:[0,0,1] op_sel_hi:[1,1,0] neg_lo:[0,0,1] neg_hi:[0,0,1]
	v_pk_fma_f32 v[36:37], v[24:25], v[108:109], v[26:27] op_sel:[0,0,1] op_sel_hi:[1,0,0]
	s_waitcnt lgkmcnt(1)
	v_pk_mul_f32 v[26:27], v[38:39], v[16:17] op_sel_hi:[1,0]
	v_mov_b32_e32 v75, v53
	v_pk_fma_f32 v[24:25], v[38:39], v[110:111], v[26:27] op_sel:[0,0,1] op_sel_hi:[1,1,0] neg_lo:[0,0,1] neg_hi:[0,0,1]
	v_pk_fma_f32 v[38:39], v[38:39], v[110:111], v[26:27] op_sel:[0,0,1] op_sel_hi:[1,0,0]
	s_waitcnt vmcnt(1)
	v_pk_mul_f32 v[26:27], v[40:41], v[116:117] op_sel:[0,1]
	v_mov_b32_e32 v45, v129
	v_pk_fma_f32 v[88:89], v[40:41], v[116:117], v[26:27] op_sel:[0,0,1] op_sel_hi:[1,1,0] neg_lo:[0,0,1] neg_hi:[0,0,1]
	v_pk_fma_f32 v[72:73], v[40:41], v[116:117], v[26:27] op_sel:[0,0,1] op_sel_hi:[1,0,0]
	v_pk_mul_f32 v[26:27], v[68:69], v[114:115] op_sel:[0,1]
	s_waitcnt vmcnt(0)
	v_pk_mul_f32 v[40:41], v[70:71], v[122:123] op_sel:[0,1]
	v_pk_fma_f32 v[82:83], v[68:69], v[114:115], v[26:27] op_sel:[0,0,1] op_sel_hi:[1,1,0] neg_lo:[0,0,1] neg_hi:[0,0,1]
	v_pk_fma_f32 v[68:69], v[68:69], v[114:115], v[26:27] op_sel:[0,0,1] op_sel_hi:[1,0,0]
	v_pk_fma_f32 v[26:27], v[70:71], v[122:123], v[40:41] op_sel:[0,0,1] op_sel_hi:[1,1,0] neg_lo:[0,0,1] neg_hi:[0,0,1]
	v_pk_fma_f32 v[40:41], v[70:71], v[122:123], v[40:41] op_sel:[0,0,1] op_sel_hi:[1,0,0]
	v_mov_b32_e32 v89, v73
	v_mov_b32_e32 v55, v137
	;; [unrolled: 1-line block ×3, first 2 shown]
	s_waitcnt lgkmcnt(0)
	v_pk_add_f32 v[52:53], v[104:105], v[50:51]
	v_pk_add_f32 v[68:69], v[46:47], v[48:49]
	;; [unrolled: 1-line block ×4, first 2 shown]
	v_mov_b32_e32 v79, v133
	v_mov_b32_e32 v85, v139
	v_mov_b32_e32 v67, v135
	v_mov_b32_e32 v77, v145
	v_pk_add_f32 v[52:53], v[52:53], v[64:65]
	v_pk_add_f32 v[68:69], v[68:69], v[74:75]
	;; [unrolled: 1-line block ×4, first 2 shown]
	v_mov_b32_e32 v87, v141
	v_mov_b32_e32 v81, v143
	v_pk_add_f32 v[52:53], v[52:53], v[78:79]
	v_pk_add_f32 v[68:69], v[68:69], v[84:85]
	v_pk_add_f32 v[70:71], v[70:71], v[66:67]
	v_pk_add_f32 v[72:73], v[72:73], v[76:77]
	v_pk_add_f32 v[52:53], v[52:53], v[86:87]
	v_pk_add_f32 v[68:69], v[68:69], v[88:89]
	v_pk_add_f32 v[70:71], v[70:71], v[80:81]
	v_pk_add_f32 v[72:73], v[72:73], v[82:83]
	v_pk_add_f32 v[92:93], v[52:53], v[68:69]
	v_pk_add_f32 v[108:109], v[70:71], v[72:73]
	ds_read_b64 v[6:7], v59
	s_waitcnt lgkmcnt(0)
	s_barrier
	ds_write2_b64 v94, v[92:93], v[108:109] offset1:100
	v_pk_add_f32 v[92:93], v[50:51], v[64:65] neg_lo:[0,1] neg_hi:[0,1]
	v_pk_add_f32 v[108:109], v[86:87], v[78:79] neg_lo:[0,1] neg_hi:[0,1]
	;; [unrolled: 1-line block ×3, first 2 shown]
	v_pk_add_f32 v[92:93], v[92:93], v[108:109]
	v_pk_add_f32 v[108:109], v[64:65], v[78:79]
	v_pk_mul_f32 v[112:113], v[110:111], s[10:11] op_sel_hi:[1,0]
	v_pk_fma_f32 v[108:109], v[108:109], 0.5, v[104:105] op_sel_hi:[1,0,1] neg_lo:[1,0,0] neg_hi:[1,0,0]
	v_pk_add_f32 v[118:119], v[88:89], v[84:85] neg_lo:[0,1] neg_hi:[0,1]
	v_pk_add_f32 v[114:115], v[108:109], v[112:113] op_sel:[0,1] op_sel_hi:[1,0]
	v_pk_add_f32 v[108:109], v[108:109], v[112:113] op_sel:[0,1] op_sel_hi:[1,0] neg_lo:[0,1] neg_hi:[0,1]
	v_pk_add_f32 v[112:113], v[64:65], v[78:79] neg_lo:[0,1] neg_hi:[0,1]
	v_pk_add_f32 v[120:121], v[48:49], v[88:89] neg_lo:[0,1] neg_hi:[0,1]
	v_pk_mul_f32 v[116:117], v[112:113], s[14:15] op_sel_hi:[1,0]
	v_pk_mul_f32 v[122:123], v[120:121], s[10:11] op_sel_hi:[1,0]
	v_pk_add_f32 v[108:109], v[108:109], v[116:117] op_sel:[0,1] op_sel_hi:[1,0] neg_lo:[0,1] neg_hi:[0,1]
	v_pk_add_f32 v[114:115], v[114:115], v[116:117] op_sel:[0,1] op_sel_hi:[1,0]
	v_pk_add_f32 v[116:117], v[48:49], v[74:75] neg_lo:[0,1] neg_hi:[0,1]
	v_pk_add_f32 v[132:133], v[14:15], v[80:81] neg_lo:[0,1] neg_hi:[0,1]
	v_pk_add_f32 v[116:117], v[116:117], v[118:119]
	v_pk_add_f32 v[118:119], v[74:75], v[84:85]
	v_pk_mul_f32 v[134:135], v[132:133], s[10:11] op_sel_hi:[1,0]
	v_pk_fma_f32 v[118:119], v[118:119], 0.5, v[46:47] op_sel_hi:[1,0,1] neg_lo:[1,0,0] neg_hi:[1,0,0]
	v_pk_add_f32 v[140:141], v[82:83], v[76:77] neg_lo:[0,1] neg_hi:[0,1]
	v_pk_add_f32 v[124:125], v[118:119], v[122:123] op_sel:[0,1] op_sel_hi:[1,0]
	v_pk_add_f32 v[118:119], v[118:119], v[122:123] op_sel:[0,1] op_sel_hi:[1,0] neg_lo:[0,1] neg_hi:[0,1]
	v_pk_add_f32 v[122:123], v[74:75], v[84:85] neg_lo:[0,1] neg_hi:[0,1]
	v_pk_add_f32 v[142:143], v[42:43], v[82:83] neg_lo:[0,1] neg_hi:[0,1]
	v_pk_mul_f32 v[126:127], v[122:123], s[14:15] op_sel_hi:[1,0]
	v_pk_mul_f32 v[144:145], v[142:143], s[10:11] op_sel_hi:[1,0]
	v_pk_add_f32 v[118:119], v[118:119], v[126:127] op_sel:[0,1] op_sel_hi:[1,0] neg_lo:[0,1] neg_hi:[0,1]
	v_pk_add_f32 v[124:125], v[124:125], v[126:127] op_sel:[0,1] op_sel_hi:[1,0]
	v_mov_b32_e32 v127, v119
	v_mov_b32_e32 v126, v124
	v_pk_fma_f32 v[126:127], v[116:117], s[12:13], v[126:127] op_sel_hi:[1,0,1]
	v_mov_b32_e32 v119, v125
	v_pk_mul_f32 v[128:129], v[126:127], s[14:15] op_sel_hi:[1,0]
	v_mov_b32_e32 v9, v17
	v_pk_fma_f32 v[130:131], v[126:127], s[4:5], v[128:129] op_sel:[0,0,1] op_sel_hi:[1,0,0]
	v_pk_fma_f32 v[126:127], v[126:127], s[4:5], v[128:129] op_sel:[0,0,1] op_sel_hi:[1,0,0] neg_lo:[0,0,1] neg_hi:[0,0,1]
	v_pk_add_f32 v[128:129], v[80:81], v[66:67] neg_lo:[0,1] neg_hi:[0,1]
	v_mov_b32_e32 v131, v127
	v_pk_add_f32 v[126:127], v[14:15], v[44:45] neg_lo:[0,1] neg_hi:[0,1]
	v_mov_b32_e32 v5, v21
	v_pk_add_f32 v[126:127], v[126:127], v[128:129]
	v_pk_add_f32 v[128:129], v[44:45], v[66:67]
	v_mov_b32_e32 v1, v29
	v_pk_fma_f32 v[128:129], v[128:129], 0.5, v[106:107] op_sel_hi:[1,0,1] neg_lo:[1,0,0] neg_hi:[1,0,0]
	v_mov_b32_e32 v3, v31
	v_pk_add_f32 v[136:137], v[128:129], v[134:135] op_sel:[0,1] op_sel_hi:[1,0]
	v_pk_add_f32 v[128:129], v[128:129], v[134:135] op_sel:[0,1] op_sel_hi:[1,0] neg_lo:[0,1] neg_hi:[0,1]
	v_pk_add_f32 v[134:135], v[44:45], v[66:67] neg_lo:[0,1] neg_hi:[0,1]
	v_mov_b32_e32 v11, v33
	v_pk_mul_f32 v[138:139], v[134:135], s[14:15] op_sel_hi:[1,0]
	v_pk_add_f32 v[28:29], v[6:7], v[4:5]
	v_pk_add_f32 v[128:129], v[128:129], v[138:139] op_sel:[0,1] op_sel_hi:[1,0] neg_lo:[0,1] neg_hi:[0,1]
	v_pk_add_f32 v[136:137], v[136:137], v[138:139] op_sel:[0,1] op_sel_hi:[1,0]
	v_pk_add_f32 v[138:139], v[42:43], v[54:55] neg_lo:[0,1] neg_hi:[0,1]
	v_pk_add_f32 v[32:33], v[8:9], v[0:1]
	v_pk_add_f32 v[138:139], v[138:139], v[140:141]
	;; [unrolled: 1-line block ×3, first 2 shown]
	v_mov_b32_e32 v19, v35
	v_pk_fma_f32 v[140:141], v[140:141], 0.5, v[12:13] op_sel_hi:[1,0,1] neg_lo:[1,0,0] neg_hi:[1,0,0]
	v_mov_b32_e32 v23, v37
	v_pk_add_f32 v[146:147], v[140:141], v[144:145] op_sel:[0,1] op_sel_hi:[1,0]
	v_pk_add_f32 v[140:141], v[140:141], v[144:145] op_sel:[0,1] op_sel_hi:[1,0] neg_lo:[0,1] neg_hi:[0,1]
	v_pk_add_f32 v[144:145], v[54:55], v[76:77] neg_lo:[0,1] neg_hi:[0,1]
	v_pk_add_f32 v[28:29], v[28:29], v[2:3]
	v_pk_mul_f32 v[148:149], v[144:145], s[14:15] op_sel_hi:[1,0]
	v_pk_add_f32 v[32:33], v[32:33], v[10:11]
	v_pk_add_f32 v[140:141], v[140:141], v[148:149] op_sel:[0,1] op_sel_hi:[1,0] neg_lo:[0,1] neg_hi:[0,1]
	v_pk_add_f32 v[146:147], v[146:147], v[148:149] op_sel:[0,1] op_sel_hi:[1,0]
	v_mov_b32_e32 v149, v141
	v_mov_b32_e32 v148, v146
	v_pk_fma_f32 v[148:149], v[138:139], s[12:13], v[148:149] op_sel_hi:[1,0,1]
	v_mov_b32_e32 v141, v147
	v_pk_mul_f32 v[150:151], v[148:149], s[14:15] op_sel_hi:[1,0]
	v_mov_b32_e32 v25, v39
	v_pk_fma_f32 v[152:153], v[148:149], s[4:5], v[150:151] op_sel:[0,0,1] op_sel_hi:[1,0,0]
	v_pk_fma_f32 v[148:149], v[148:149], s[4:5], v[150:151] op_sel:[0,0,1] op_sel_hi:[1,0,0] neg_lo:[0,0,1] neg_hi:[0,0,1]
	v_mov_b32_e32 v150, v136
	v_mov_b32_e32 v153, v149
	v_mov_b32_e32 v148, v114
	v_mov_b32_e32 v149, v109
	v_mov_b32_e32 v151, v129
	v_pk_fma_f32 v[148:149], v[92:93], s[12:13], v[148:149] op_sel_hi:[1,0,1]
	v_pk_fma_f32 v[150:151], v[126:127], s[12:13], v[150:151] op_sel_hi:[1,0,1]
	v_pk_add_f32 v[154:155], v[148:149], v[130:131]
	v_pk_add_f32 v[156:157], v[150:151], v[152:153]
	ds_write2_b64 v102, v[154:155], v[156:157] offset0:44 offset1:144
	v_pk_add_f32 v[102:103], v[50:51], v[86:87]
	v_pk_add_f32 v[50:51], v[64:65], v[50:51] neg_lo:[0,1] neg_hi:[0,1]
	v_pk_fma_f32 v[102:103], v[102:103], 0.5, v[104:105] op_sel_hi:[1,0,1] neg_lo:[1,0,0] neg_hi:[1,0,0]
	v_pk_add_f32 v[104:105], v[14:15], v[80:81]
	v_pk_add_f32 v[14:15], v[44:45], v[14:15] neg_lo:[0,1] neg_hi:[0,1]
	v_pk_add_f32 v[44:45], v[66:67], v[80:81] neg_lo:[0,1] neg_hi:[0,1]
	;; [unrolled: 1-line block ×3, first 2 shown]
	v_pk_add_f32 v[14:15], v[14:15], v[44:45]
	v_pk_add_f32 v[44:45], v[42:43], v[82:83]
	v_pk_add_f32 v[42:43], v[54:55], v[42:43] neg_lo:[0,1] neg_hi:[0,1]
	v_pk_fma_f32 v[12:13], v[44:45], 0.5, v[12:13] op_sel_hi:[1,0,1] neg_lo:[1,0,0] neg_hi:[1,0,0]
	v_pk_add_f32 v[44:45], v[76:77], v[82:83] neg_lo:[0,1] neg_hi:[0,1]
	v_pk_fma_f32 v[104:105], v[104:105], 0.5, v[106:107] op_sel_hi:[1,0,1] neg_lo:[1,0,0] neg_hi:[1,0,0]
	v_pk_add_f32 v[50:51], v[50:51], v[64:65]
	v_pk_add_f32 v[64:65], v[48:49], v[88:89]
	;; [unrolled: 1-line block ×3, first 2 shown]
	v_pk_mul_f32 v[44:45], v[134:135], s[10:11] op_sel_hi:[1,0]
	v_pk_fma_f32 v[46:47], v[64:65], 0.5, v[46:47] op_sel_hi:[1,0,1] neg_lo:[1,0,0] neg_hi:[1,0,0]
	v_pk_add_f32 v[48:49], v[74:75], v[48:49] neg_lo:[0,1] neg_hi:[0,1]
	v_pk_add_f32 v[64:65], v[84:85], v[88:89] neg_lo:[0,1] neg_hi:[0,1]
	v_pk_add_f32 v[54:55], v[104:105], v[44:45] op_sel:[0,1] op_sel_hi:[1,0] neg_lo:[0,1] neg_hi:[0,1]
	v_pk_add_f32 v[44:45], v[104:105], v[44:45] op_sel:[0,1] op_sel_hi:[1,0]
	v_pk_mul_f32 v[66:67], v[132:133], s[14:15] op_sel_hi:[1,0]
	v_pk_add_f32 v[48:49], v[48:49], v[64:65]
	v_pk_mul_f32 v[64:65], v[112:113], s[10:11] op_sel_hi:[1,0]
	v_pk_add_f32 v[44:45], v[44:45], v[66:67] op_sel:[0,1] op_sel_hi:[1,0] neg_lo:[0,1] neg_hi:[0,1]
	v_pk_add_f32 v[54:55], v[54:55], v[66:67] op_sel:[0,1] op_sel_hi:[1,0]
	v_pk_mul_f32 v[66:67], v[144:145], s[10:11] op_sel_hi:[1,0]
	v_pk_add_f32 v[74:75], v[102:103], v[64:65] op_sel:[0,1] op_sel_hi:[1,0] neg_lo:[0,1] neg_hi:[0,1]
	v_pk_add_f32 v[64:65], v[102:103], v[64:65] op_sel:[0,1] op_sel_hi:[1,0]
	v_pk_mul_f32 v[78:79], v[110:111], s[14:15] op_sel_hi:[1,0]
	v_pk_add_f32 v[76:77], v[12:13], v[66:67] op_sel:[0,1] op_sel_hi:[1,0] neg_lo:[0,1] neg_hi:[0,1]
	v_pk_add_f32 v[12:13], v[12:13], v[66:67] op_sel:[0,1] op_sel_hi:[1,0]
	v_pk_mul_f32 v[66:67], v[142:143], s[14:15] op_sel_hi:[1,0]
	v_pk_add_f32 v[64:65], v[64:65], v[78:79] op_sel:[0,1] op_sel_hi:[1,0] neg_lo:[0,1] neg_hi:[0,1]
	v_pk_add_f32 v[74:75], v[74:75], v[78:79] op_sel:[0,1] op_sel_hi:[1,0]
	v_pk_mul_f32 v[78:79], v[122:123], s[10:11] op_sel_hi:[1,0]
	v_pk_add_f32 v[12:13], v[12:13], v[66:67] op_sel:[0,1] op_sel_hi:[1,0] neg_lo:[0,1] neg_hi:[0,1]
	v_pk_add_f32 v[66:67], v[76:77], v[66:67] op_sel:[0,1] op_sel_hi:[1,0]
	v_pk_add_f32 v[84:85], v[46:47], v[78:79] op_sel:[0,1] op_sel_hi:[1,0] neg_lo:[0,1] neg_hi:[0,1]
	v_pk_add_f32 v[46:47], v[46:47], v[78:79] op_sel:[0,1] op_sel_hi:[1,0]
	v_pk_mul_f32 v[78:79], v[120:121], s[14:15] op_sel_hi:[1,0]
	v_mov_b32_e32 v76, v66
	v_mov_b32_e32 v77, v13
	v_pk_add_f32 v[46:47], v[46:47], v[78:79] op_sel:[0,1] op_sel_hi:[1,0] neg_lo:[0,1] neg_hi:[0,1]
	v_pk_add_f32 v[78:79], v[84:85], v[78:79] op_sel:[0,1] op_sel_hi:[1,0]
	v_pk_fma_f32 v[76:77], v[42:43], s[12:13], v[76:77] op_sel_hi:[1,0,1]
	v_mov_b32_e32 v85, v47
	v_pk_mul_f32 v[80:81], v[76:77], s[10:11] op_sel_hi:[1,0]
	v_mov_b32_e32 v47, v79
	v_mov_b32_e32 v13, v67
	;; [unrolled: 1-line block ×3, first 2 shown]
	v_pk_fma_f32 v[82:83], v[76:77], s[12:13], v[80:81] op_sel:[0,0,1] op_sel_hi:[1,0,0]
	v_pk_fma_f32 v[76:77], v[76:77], s[12:13], v[80:81] op_sel:[0,0,1] op_sel_hi:[1,0,0] neg_lo:[0,0,1] neg_hi:[0,0,1]
	v_pk_fma_f32 v[46:47], v[48:49], s[12:13], v[46:47] op_sel_hi:[1,0,1]
	v_pk_fma_f32 v[12:13], v[42:43], s[12:13], v[12:13] op_sel_hi:[1,0,1]
	;; [unrolled: 1-line block ×3, first 2 shown]
	v_mov_b32_e32 v83, v77
	v_mov_b32_e32 v76, v74
	;; [unrolled: 1-line block ×6, first 2 shown]
	v_pk_mul_f32 v[48:49], v[46:47], s[12:13] op_sel_hi:[1,0]
	v_mov_b32_e32 v45, v55
	v_pk_mul_f32 v[42:43], v[12:13], s[12:13] op_sel_hi:[1,0]
	v_pk_fma_f32 v[76:77], v[50:51], s[12:13], v[76:77] op_sel_hi:[1,0,1]
	v_pk_fma_f32 v[80:81], v[14:15], s[12:13], v[80:81] op_sel_hi:[1,0,1]
	;; [unrolled: 1-line block ×3, first 2 shown]
	v_pk_fma_f32 v[46:47], v[46:47], s[16:17], v[48:49] op_sel:[0,0,1] op_sel_hi:[1,1,0] neg_lo:[0,0,1] neg_hi:[0,0,1]
	v_pk_fma_f32 v[14:15], v[14:15], s[12:13], v[44:45] op_sel_hi:[1,0,1]
	v_pk_fma_f32 v[12:13], v[12:13], s[16:17], v[42:43] op_sel:[0,0,1] op_sel_hi:[1,1,0] neg_lo:[0,0,1] neg_hi:[0,0,1]
	v_pk_add_f32 v[42:43], v[50:51], v[46:47] op_sel:[0,1] op_sel_hi:[1,0]
	v_pk_add_f32 v[44:45], v[14:15], v[12:13] op_sel:[0,1] op_sel_hi:[1,0]
	ds_write2_b64 v101, v[42:43], v[44:45] offset0:132 offset1:232
	v_pk_fma_f32 v[44:45], v[116:117], s[12:13], v[118:119] op_sel_hi:[1,0,1]
	v_pk_fma_f32 v[54:55], v[138:139], s[12:13], v[140:141] op_sel_hi:[1,0,1]
	v_pk_mul_f32 v[86:87], v[84:85], s[10:11] op_sel_hi:[1,0]
	v_mov_b32_e32 v109, v115
	v_pk_mul_f32 v[48:49], v[44:45], s[4:5] op_sel_hi:[1,0]
	v_mov_b32_e32 v129, v137
	v_pk_mul_f32 v[64:65], v[54:55], s[4:5] op_sel_hi:[1,0]
	v_pk_fma_f32 v[88:89], v[84:85], s[12:13], v[86:87] op_sel:[0,0,1] op_sel_hi:[1,0,0]
	v_pk_fma_f32 v[84:85], v[84:85], s[12:13], v[86:87] op_sel:[0,0,1] op_sel_hi:[1,0,0] neg_lo:[0,0,1] neg_hi:[0,0,1]
	v_pk_fma_f32 v[42:43], v[92:93], s[12:13], v[108:109] op_sel_hi:[1,0,1]
	v_pk_fma_f32 v[44:45], v[44:45], s[18:19], v[48:49] op_sel:[0,0,1] op_sel_hi:[1,1,0] neg_lo:[0,0,1] neg_hi:[0,0,1]
	v_pk_fma_f32 v[48:49], v[126:127], s[12:13], v[128:129] op_sel_hi:[1,0,1]
	v_pk_fma_f32 v[54:55], v[54:55], s[18:19], v[64:65] op_sel:[0,0,1] op_sel_hi:[1,1,0] neg_lo:[0,0,1] neg_hi:[0,0,1]
	v_mov_b32_e32 v89, v85
	v_pk_add_f32 v[64:65], v[42:43], v[44:45] op_sel:[0,1] op_sel_hi:[1,0]
	v_pk_add_f32 v[66:67], v[48:49], v[54:55] op_sel:[0,1] op_sel_hi:[1,0]
	v_mov_b32_e32 v27, v41
	v_pk_add_f32 v[16:17], v[148:149], v[130:131] neg_lo:[0,1] neg_hi:[0,1]
	v_pk_add_f32 v[28:29], v[28:29], v[18:19]
	v_pk_add_f32 v[30:31], v[50:51], v[46:47] op_sel:[0,1] op_sel_hi:[1,0] neg_lo:[0,1] neg_hi:[0,1]
	v_pk_add_f32 v[32:33], v[32:33], v[22:23]
	v_pk_add_f32 v[38:39], v[150:151], v[152:153] neg_lo:[0,1] neg_hi:[0,1]
	v_pk_add_f32 v[12:13], v[14:15], v[12:13] op_sel:[0,1] op_sel_hi:[1,0] neg_lo:[0,1] neg_hi:[0,1]
	v_pk_add_f32 v[84:85], v[76:77], v[88:89]
	v_pk_add_f32 v[86:87], v[80:81], v[82:83]
	ds_write2_b64 v97, v[64:65], v[66:67] offset0:48 offset1:148
	v_pk_add_f32 v[52:53], v[52:53], v[68:69] neg_lo:[0,1] neg_hi:[0,1]
	v_pk_add_f32 v[64:65], v[70:71], v[72:73] neg_lo:[0,1] neg_hi:[0,1]
	;; [unrolled: 1-line block ×3, first 2 shown]
	v_pk_add_f32 v[28:29], v[28:29], v[24:25]
	v_pk_add_f32 v[32:33], v[32:33], v[26:27]
	v_pk_add_f32 v[34:35], v[42:43], v[44:45] op_sel:[0,1] op_sel_hi:[1,0] neg_lo:[0,1] neg_hi:[0,1]
	ds_write2_b64 v95, v[16:17], v[38:39] offset0:8 offset1:108
	v_pk_add_f32 v[16:17], v[80:81], v[82:83] neg_lo:[0,1] neg_hi:[0,1]
	ds_write2_b64 v96, v[30:31], v[12:13] offset0:96 offset1:196
	v_pk_add_f32 v[12:13], v[48:49], v[54:55] op_sel:[0,1] op_sel_hi:[1,0] neg_lo:[0,1] neg_hi:[0,1]
	ds_write2_b64 v98, v[84:85], v[86:87] offset0:88 offset1:188
	ds_write2_b64 v90, v[52:53], v[64:65] offset0:92 offset1:192
	v_pk_add_f32 v[36:37], v[28:29], v[32:33]
	ds_write2_b64 v99, v[20:21], v[16:17] offset0:52 offset1:152
	ds_write2_b64 v100, v[34:35], v[12:13] offset0:140 offset1:240
	ds_write_b64 v59, v[36:37]
	v_pk_add_f32 v[12:13], v[2:3], v[18:19]
	v_pk_add_f32 v[14:15], v[4:5], v[24:25] neg_lo:[0,1] neg_hi:[0,1]
	v_pk_fma_f32 v[12:13], v[12:13], 0.5, v[6:7] op_sel_hi:[1,0,1] neg_lo:[1,0,0] neg_hi:[1,0,0]
	v_pk_mul_f32 v[16:17], v[14:15], s[10:11] op_sel_hi:[1,0]
	v_pk_add_f32 v[20:21], v[2:3], v[18:19] neg_lo:[0,1] neg_hi:[0,1]
	v_pk_add_f32 v[34:35], v[4:5], v[2:3] neg_lo:[0,1] neg_hi:[0,1]
	;; [unrolled: 1-line block ×3, first 2 shown]
	v_pk_mul_f32 v[30:31], v[20:21], s[14:15] op_sel_hi:[1,0]
	v_pk_add_f32 v[34:35], v[34:35], v[36:37]
	v_pk_add_f32 v[36:37], v[12:13], v[16:17] op_sel:[0,1] op_sel_hi:[1,0]
	v_pk_add_f32 v[12:13], v[12:13], v[16:17] op_sel:[0,1] op_sel_hi:[1,0] neg_lo:[0,1] neg_hi:[0,1]
	v_pk_add_f32 v[16:17], v[36:37], v[30:31] op_sel:[0,1] op_sel_hi:[1,0]
	v_pk_add_f32 v[36:37], v[10:11], v[22:23]
	v_pk_add_f32 v[38:39], v[0:1], v[26:27] neg_lo:[0,1] neg_hi:[0,1]
	v_pk_fma_f32 v[36:37], v[36:37], 0.5, v[8:9] op_sel_hi:[1,0,1] neg_lo:[1,0,0] neg_hi:[1,0,0]
	v_pk_mul_f32 v[40:41], v[38:39], s[10:11] op_sel_hi:[1,0]
	v_pk_add_f32 v[42:43], v[10:11], v[22:23] neg_lo:[0,1] neg_hi:[0,1]
	v_pk_add_f32 v[46:47], v[0:1], v[10:11] neg_lo:[0,1] neg_hi:[0,1]
	;; [unrolled: 1-line block ×3, first 2 shown]
	v_pk_mul_f32 v[44:45], v[42:43], s[14:15] op_sel_hi:[1,0]
	v_pk_add_f32 v[46:47], v[46:47], v[48:49]
	v_pk_add_f32 v[48:49], v[36:37], v[40:41] op_sel:[0,1] op_sel_hi:[1,0]
	v_pk_add_f32 v[36:37], v[36:37], v[40:41] op_sel:[0,1] op_sel_hi:[1,0] neg_lo:[0,1] neg_hi:[0,1]
	v_pk_add_f32 v[40:41], v[48:49], v[44:45] op_sel:[0,1] op_sel_hi:[1,0]
	v_pk_add_f32 v[36:37], v[36:37], v[44:45] op_sel:[0,1] op_sel_hi:[1,0] neg_lo:[0,1] neg_hi:[0,1]
	v_mov_b32_e32 v44, v40
	v_mov_b32_e32 v45, v37
	v_pk_fma_f32 v[44:45], v[46:47], s[12:13], v[44:45] op_sel_hi:[1,0,1]
	v_pk_add_f32 v[12:13], v[12:13], v[30:31] op_sel:[0,1] op_sel_hi:[1,0] neg_lo:[0,1] neg_hi:[0,1]
	v_pk_mul_f32 v[48:49], v[44:45], s[14:15] op_sel_hi:[1,0]
	v_mov_b32_e32 v30, v16
	v_mov_b32_e32 v31, v13
	v_pk_fma_f32 v[50:51], v[44:45], s[4:5], v[48:49] op_sel:[0,0,1] op_sel_hi:[1,0,0]
	v_pk_fma_f32 v[44:45], v[44:45], s[4:5], v[48:49] op_sel:[0,0,1] op_sel_hi:[1,0,0] neg_lo:[0,0,1] neg_hi:[0,0,1]
	v_pk_fma_f32 v[30:31], v[34:35], s[12:13], v[30:31] op_sel_hi:[1,0,1]
	v_mov_b32_e32 v51, v45
	v_pk_add_f32 v[44:45], v[30:31], v[50:51]
	ds_write_b64 v59, v[44:45] offset:2400
	v_pk_add_f32 v[44:45], v[4:5], v[24:25]
	v_pk_add_f32 v[2:3], v[2:3], v[4:5] neg_lo:[0,1] neg_hi:[0,1]
	v_pk_add_f32 v[4:5], v[18:19], v[24:25] neg_lo:[0,1] neg_hi:[0,1]
	v_pk_fma_f32 v[6:7], v[44:45], 0.5, v[6:7] op_sel_hi:[1,0,1] neg_lo:[1,0,0] neg_hi:[1,0,0]
	v_pk_add_f32 v[2:3], v[2:3], v[4:5]
	v_pk_add_f32 v[4:5], v[0:1], v[26:27]
	v_pk_add_f32 v[0:1], v[10:11], v[0:1] neg_lo:[0,1] neg_hi:[0,1]
	v_pk_fma_f32 v[4:5], v[4:5], 0.5, v[8:9] op_sel_hi:[1,0,1] neg_lo:[1,0,0] neg_hi:[1,0,0]
	v_pk_add_f32 v[8:9], v[22:23], v[26:27] neg_lo:[0,1] neg_hi:[0,1]
	v_pk_mul_f32 v[10:11], v[14:15], s[14:15] op_sel_hi:[1,0]
	v_pk_add_f32 v[0:1], v[0:1], v[8:9]
	v_pk_mul_f32 v[8:9], v[20:21], s[10:11] op_sel_hi:[1,0]
	v_pk_mul_f32 v[18:19], v[38:39], s[14:15] op_sel_hi:[1,0]
	v_pk_add_f32 v[14:15], v[6:7], v[8:9] op_sel:[0,1] op_sel_hi:[1,0] neg_lo:[0,1] neg_hi:[0,1]
	v_pk_add_f32 v[6:7], v[6:7], v[8:9] op_sel:[0,1] op_sel_hi:[1,0]
	v_pk_add_f32 v[8:9], v[14:15], v[10:11] op_sel:[0,1] op_sel_hi:[1,0]
	v_pk_mul_f32 v[14:15], v[42:43], s[10:11] op_sel_hi:[1,0]
	v_pk_add_f32 v[6:7], v[6:7], v[10:11] op_sel:[0,1] op_sel_hi:[1,0] neg_lo:[0,1] neg_hi:[0,1]
	v_pk_add_f32 v[20:21], v[4:5], v[14:15] op_sel:[0,1] op_sel_hi:[1,0] neg_lo:[0,1] neg_hi:[0,1]
	v_pk_add_f32 v[4:5], v[4:5], v[14:15] op_sel:[0,1] op_sel_hi:[1,0]
	v_pk_add_f32 v[14:15], v[20:21], v[18:19] op_sel:[0,1] op_sel_hi:[1,0]
	v_pk_add_f32 v[4:5], v[4:5], v[18:19] op_sel:[0,1] op_sel_hi:[1,0] neg_lo:[0,1] neg_hi:[0,1]
	v_mov_b32_e32 v18, v14
	v_mov_b32_e32 v19, v5
	;; [unrolled: 1-line block ×3, first 2 shown]
	v_pk_fma_f32 v[18:19], v[0:1], s[12:13], v[18:19] op_sel_hi:[1,0,1]
	v_pk_fma_f32 v[0:1], v[0:1], s[12:13], v[4:5] op_sel_hi:[1,0,1]
	v_mov_b32_e32 v10, v8
	v_mov_b32_e32 v11, v7
	v_mov_b32_e32 v7, v9
	v_pk_mul_f32 v[4:5], v[0:1], s[12:13] op_sel_hi:[1,0]
	v_mov_b32_e32 v37, v41
	v_pk_fma_f32 v[10:11], v[2:3], s[12:13], v[10:11] op_sel_hi:[1,0,1]
	v_pk_fma_f32 v[2:3], v[2:3], s[12:13], v[6:7] op_sel_hi:[1,0,1]
	v_pk_fma_f32 v[0:1], v[0:1], s[16:17], v[4:5] op_sel:[0,0,1] op_sel_hi:[1,1,0] neg_lo:[0,0,1] neg_hi:[0,0,1]
	v_pk_fma_f32 v[6:7], v[46:47], s[12:13], v[36:37] op_sel_hi:[1,0,1]
	v_pk_add_f32 v[4:5], v[2:3], v[0:1] op_sel:[0,1] op_sel_hi:[1,0]
	v_mov_b32_e32 v13, v17
	v_pk_mul_f32 v[8:9], v[6:7], s[4:5] op_sel_hi:[1,0]
	ds_write_b64 v59, v[4:5] offset:7200
	v_pk_fma_f32 v[4:5], v[34:35], s[12:13], v[12:13] op_sel_hi:[1,0,1]
	v_pk_fma_f32 v[6:7], v[6:7], s[18:19], v[8:9] op_sel:[0,0,1] op_sel_hi:[1,1,0] neg_lo:[0,0,1] neg_hi:[0,0,1]
	v_pk_mul_f32 v[20:21], v[18:19], s[10:11] op_sel_hi:[1,0]
	v_pk_add_f32 v[8:9], v[4:5], v[6:7] op_sel:[0,1] op_sel_hi:[1,0]
	v_pk_fma_f32 v[22:23], v[18:19], s[12:13], v[20:21] op_sel:[0,0,1] op_sel_hi:[1,0,0]
	v_pk_fma_f32 v[18:19], v[18:19], s[12:13], v[20:21] op_sel:[0,0,1] op_sel_hi:[1,0,0] neg_lo:[0,0,1] neg_hi:[0,0,1]
	ds_write_b64 v59, v[8:9] offset:9600
	v_pk_add_f32 v[8:9], v[28:29], v[32:33] neg_lo:[0,1] neg_hi:[0,1]
	v_mov_b32_e32 v23, v19
	ds_write_b64 v59, v[8:9] offset:12000
	v_pk_add_f32 v[8:9], v[30:31], v[50:51] neg_lo:[0,1] neg_hi:[0,1]
	v_pk_add_f32 v[0:1], v[2:3], v[0:1] op_sel:[0,1] op_sel_hi:[1,0] neg_lo:[0,1] neg_hi:[0,1]
	v_pk_add_f32 v[18:19], v[10:11], v[22:23]
	ds_write_b64 v59, v[8:9] offset:14400
	v_pk_add_f32 v[8:9], v[10:11], v[22:23] neg_lo:[0,1] neg_hi:[0,1]
	ds_write_b64 v59, v[0:1] offset:19200
	v_pk_add_f32 v[0:1], v[4:5], v[6:7] op_sel:[0,1] op_sel_hi:[1,0] neg_lo:[0,1] neg_hi:[0,1]
	ds_write_b64 v59, v[18:19] offset:4800
	ds_write_b64 v59, v[8:9] offset:16800
	ds_write_b64 v59, v[0:1] offset:21600
	s_waitcnt lgkmcnt(0)
	s_barrier
	s_and_saveexec_b64 s[4:5], s[0:1]
	s_cbranch_execz .LBB0_21
; %bb.20:
	v_mul_lo_u32 v0, s3, v60
	v_mul_lo_u32 v1, s2, v61
	v_mad_u64_u32 v[4:5], s[0:1], s2, v60, 0
	v_lshl_add_u32 v10, v58, 3, 0
	v_add3_u32 v5, v5, v1, v0
	ds_read2_b64 v[0:3], v10 offset1:100
	v_lshl_add_u64 v[4:5], v[4:5], 3, s[6:7]
	v_mov_b32_e32 v59, v63
	v_lshl_add_u64 v[8:9], v[56:57], 3, v[4:5]
	v_lshl_add_u64 v[4:5], v[58:59], 3, v[8:9]
	s_waitcnt lgkmcnt(0)
	global_store_dwordx2 v[4:5], v[0:1], off
	v_add_u32_e32 v0, 0x400, v10
	ds_read2_b64 v[4:7], v0 offset0:72 offset1:172
	v_add_u32_e32 v62, 0x64, v58
	v_lshl_add_u64 v[0:1], v[62:63], 3, v[8:9]
	v_add_u32_e32 v62, 0xc8, v58
	global_store_dwordx2 v[0:1], v[2:3], off
	v_lshl_add_u64 v[0:1], v[62:63], 3, v[8:9]
	s_waitcnt lgkmcnt(0)
	global_store_dwordx2 v[0:1], v[4:5], off
	v_add_u32_e32 v0, 0x800, v10
	ds_read2_b64 v[0:3], v0 offset0:144 offset1:244
	v_add_u32_e32 v62, 0x12c, v58
	v_lshl_add_u64 v[4:5], v[62:63], 3, v[8:9]
	v_add_u32_e32 v62, 0x190, v58
	global_store_dwordx2 v[4:5], v[6:7], off
	v_lshl_add_u64 v[4:5], v[62:63], 3, v[8:9]
	s_waitcnt lgkmcnt(0)
	global_store_dwordx2 v[4:5], v[0:1], off
	v_add_u32_e32 v0, 0x1000, v10
	ds_read2_b64 v[4:7], v0 offset0:88 offset1:188
	v_add_u32_e32 v62, 0x1f4, v58
	v_lshl_add_u64 v[0:1], v[62:63], 3, v[8:9]
	v_add_u32_e32 v62, 0x258, v58
	global_store_dwordx2 v[0:1], v[2:3], off
	v_lshl_add_u64 v[0:1], v[62:63], 3, v[8:9]
	s_waitcnt lgkmcnt(0)
	global_store_dwordx2 v[0:1], v[4:5], off
	v_add_u32_e32 v0, 0x1800, v10
	ds_read2_b64 v[0:3], v0 offset0:32 offset1:132
	v_add_u32_e32 v62, 0x2bc, v58
	v_lshl_add_u64 v[4:5], v[62:63], 3, v[8:9]
	v_add_u32_e32 v62, 0x320, v58
	global_store_dwordx2 v[4:5], v[6:7], off
	v_lshl_add_u64 v[4:5], v[62:63], 3, v[8:9]
	s_waitcnt lgkmcnt(0)
	global_store_dwordx2 v[4:5], v[0:1], off
	v_add_u32_e32 v0, 0x1c00, v10
	ds_read2_b64 v[4:7], v0 offset0:104 offset1:204
	v_add_u32_e32 v62, 0x384, v58
	v_lshl_add_u64 v[0:1], v[62:63], 3, v[8:9]
	v_add_u32_e32 v62, 0x3e8, v58
	global_store_dwordx2 v[0:1], v[2:3], off
	v_lshl_add_u64 v[0:1], v[62:63], 3, v[8:9]
	s_waitcnt lgkmcnt(0)
	global_store_dwordx2 v[0:1], v[4:5], off
	v_add_u32_e32 v0, 0x2400, v10
	ds_read2_b64 v[0:3], v0 offset0:48 offset1:148
	v_add_u32_e32 v62, 0x44c, v58
	v_lshl_add_u64 v[4:5], v[62:63], 3, v[8:9]
	v_add_u32_e32 v62, 0x4b0, v58
	global_store_dwordx2 v[4:5], v[6:7], off
	v_lshl_add_u64 v[4:5], v[62:63], 3, v[8:9]
	s_waitcnt lgkmcnt(0)
	global_store_dwordx2 v[4:5], v[0:1], off
	v_add_u32_e32 v0, 0x2800, v10
	ds_read2_b64 v[4:7], v0 offset0:120 offset1:220
	v_add_u32_e32 v62, 0x514, v58
	v_lshl_add_u64 v[0:1], v[62:63], 3, v[8:9]
	v_add_u32_e32 v62, 0x578, v58
	global_store_dwordx2 v[0:1], v[2:3], off
	v_lshl_add_u64 v[0:1], v[62:63], 3, v[8:9]
	s_waitcnt lgkmcnt(0)
	global_store_dwordx2 v[0:1], v[4:5], off
	v_add_u32_e32 v0, 0x3000, v10
	ds_read2_b64 v[0:3], v0 offset0:64 offset1:164
	v_add_u32_e32 v62, 0x5dc, v58
	v_lshl_add_u64 v[4:5], v[62:63], 3, v[8:9]
	v_add_u32_e32 v62, 0x640, v58
	global_store_dwordx2 v[4:5], v[6:7], off
	v_lshl_add_u64 v[4:5], v[62:63], 3, v[8:9]
	s_waitcnt lgkmcnt(0)
	global_store_dwordx2 v[4:5], v[0:1], off
	v_add_u32_e32 v0, 0x3800, v10
	ds_read2_b64 v[4:7], v0 offset0:8 offset1:108
	v_add_u32_e32 v62, 0x6a4, v58
	v_lshl_add_u64 v[0:1], v[62:63], 3, v[8:9]
	v_add_u32_e32 v62, 0x708, v58
	global_store_dwordx2 v[0:1], v[2:3], off
	v_lshl_add_u64 v[0:1], v[62:63], 3, v[8:9]
	s_waitcnt lgkmcnt(0)
	global_store_dwordx2 v[0:1], v[4:5], off
	v_add_u32_e32 v0, 0x3c00, v10
	ds_read2_b64 v[0:3], v0 offset0:80 offset1:180
	v_add_u32_e32 v62, 0x76c, v58
	v_lshl_add_u64 v[4:5], v[62:63], 3, v[8:9]
	v_add_u32_e32 v62, 0x7d0, v58
	global_store_dwordx2 v[4:5], v[6:7], off
	v_lshl_add_u64 v[4:5], v[62:63], 3, v[8:9]
	s_waitcnt lgkmcnt(0)
	global_store_dwordx2 v[4:5], v[0:1], off
	v_add_u32_e32 v0, 0x4000, v10
	ds_read2_b64 v[4:7], v0 offset0:152 offset1:252
	v_add_u32_e32 v62, 0x834, v58
	v_lshl_add_u64 v[0:1], v[62:63], 3, v[8:9]
	v_add_u32_e32 v62, 0x898, v58
	global_store_dwordx2 v[0:1], v[2:3], off
	v_lshl_add_u64 v[0:1], v[62:63], 3, v[8:9]
	s_waitcnt lgkmcnt(0)
	global_store_dwordx2 v[0:1], v[4:5], off
	v_add_u32_e32 v0, 0x4800, v10
	ds_read2_b64 v[0:3], v0 offset0:96 offset1:196
	v_add_u32_e32 v62, 0x8fc, v58
	v_lshl_add_u64 v[4:5], v[62:63], 3, v[8:9]
	v_add_u32_e32 v62, 0x960, v58
	global_store_dwordx2 v[4:5], v[6:7], off
	v_lshl_add_u64 v[4:5], v[62:63], 3, v[8:9]
	s_waitcnt lgkmcnt(0)
	global_store_dwordx2 v[4:5], v[0:1], off
	v_add_u32_e32 v0, 0x5000, v10
	ds_read2_b64 v[4:7], v0 offset0:40 offset1:140
	v_add_u32_e32 v62, 0x9c4, v58
	v_lshl_add_u64 v[0:1], v[62:63], 3, v[8:9]
	v_add_u32_e32 v62, 0xa28, v58
	global_store_dwordx2 v[0:1], v[2:3], off
	v_lshl_add_u64 v[0:1], v[62:63], 3, v[8:9]
	s_waitcnt lgkmcnt(0)
	global_store_dwordx2 v[0:1], v[4:5], off
	v_add_u32_e32 v0, 0x5400, v10
	ds_read2_b64 v[0:3], v0 offset0:112 offset1:212
	v_add_u32_e32 v62, 0xa8c, v58
	v_lshl_add_u64 v[4:5], v[62:63], 3, v[8:9]
	v_add_u32_e32 v62, 0xaf0, v58
	global_store_dwordx2 v[4:5], v[6:7], off
	v_lshl_add_u64 v[4:5], v[62:63], 3, v[8:9]
	v_add_u32_e32 v62, 0xb54, v58
	s_waitcnt lgkmcnt(0)
	global_store_dwordx2 v[4:5], v[0:1], off
	v_lshl_add_u64 v[0:1], v[62:63], 3, v[8:9]
	global_store_dwordx2 v[0:1], v[2:3], off
.LBB0_21:
	s_endpgm
	.section	.rodata,"a",@progbits
	.p2align	6, 0x0
	.amdhsa_kernel fft_rtc_fwd_len3000_factors_10_3_10_10_wgs_100_tpt_100_halfLds_sp_op_CI_CI_unitstride_sbrr_C2R_dirReg
		.amdhsa_group_segment_fixed_size 0
		.amdhsa_private_segment_fixed_size 0
		.amdhsa_kernarg_size 104
		.amdhsa_user_sgpr_count 2
		.amdhsa_user_sgpr_dispatch_ptr 0
		.amdhsa_user_sgpr_queue_ptr 0
		.amdhsa_user_sgpr_kernarg_segment_ptr 1
		.amdhsa_user_sgpr_dispatch_id 0
		.amdhsa_user_sgpr_kernarg_preload_length 0
		.amdhsa_user_sgpr_kernarg_preload_offset 0
		.amdhsa_user_sgpr_private_segment_size 0
		.amdhsa_uses_dynamic_stack 0
		.amdhsa_enable_private_segment 0
		.amdhsa_system_sgpr_workgroup_id_x 1
		.amdhsa_system_sgpr_workgroup_id_y 0
		.amdhsa_system_sgpr_workgroup_id_z 0
		.amdhsa_system_sgpr_workgroup_info 0
		.amdhsa_system_vgpr_workitem_id 0
		.amdhsa_next_free_vgpr 164
		.amdhsa_next_free_sgpr 28
		.amdhsa_accum_offset 164
		.amdhsa_reserve_vcc 1
		.amdhsa_float_round_mode_32 0
		.amdhsa_float_round_mode_16_64 0
		.amdhsa_float_denorm_mode_32 3
		.amdhsa_float_denorm_mode_16_64 3
		.amdhsa_dx10_clamp 1
		.amdhsa_ieee_mode 1
		.amdhsa_fp16_overflow 0
		.amdhsa_tg_split 0
		.amdhsa_exception_fp_ieee_invalid_op 0
		.amdhsa_exception_fp_denorm_src 0
		.amdhsa_exception_fp_ieee_div_zero 0
		.amdhsa_exception_fp_ieee_overflow 0
		.amdhsa_exception_fp_ieee_underflow 0
		.amdhsa_exception_fp_ieee_inexact 0
		.amdhsa_exception_int_div_zero 0
	.end_amdhsa_kernel
	.text
.Lfunc_end0:
	.size	fft_rtc_fwd_len3000_factors_10_3_10_10_wgs_100_tpt_100_halfLds_sp_op_CI_CI_unitstride_sbrr_C2R_dirReg, .Lfunc_end0-fft_rtc_fwd_len3000_factors_10_3_10_10_wgs_100_tpt_100_halfLds_sp_op_CI_CI_unitstride_sbrr_C2R_dirReg
                                        ; -- End function
	.section	.AMDGPU.csdata,"",@progbits
; Kernel info:
; codeLenInByte = 18172
; NumSgprs: 34
; NumVgprs: 164
; NumAgprs: 0
; TotalNumVgprs: 164
; ScratchSize: 0
; MemoryBound: 0
; FloatMode: 240
; IeeeMode: 1
; LDSByteSize: 0 bytes/workgroup (compile time only)
; SGPRBlocks: 4
; VGPRBlocks: 20
; NumSGPRsForWavesPerEU: 34
; NumVGPRsForWavesPerEU: 164
; AccumOffset: 164
; Occupancy: 3
; WaveLimiterHint : 1
; COMPUTE_PGM_RSRC2:SCRATCH_EN: 0
; COMPUTE_PGM_RSRC2:USER_SGPR: 2
; COMPUTE_PGM_RSRC2:TRAP_HANDLER: 0
; COMPUTE_PGM_RSRC2:TGID_X_EN: 1
; COMPUTE_PGM_RSRC2:TGID_Y_EN: 0
; COMPUTE_PGM_RSRC2:TGID_Z_EN: 0
; COMPUTE_PGM_RSRC2:TIDIG_COMP_CNT: 0
; COMPUTE_PGM_RSRC3_GFX90A:ACCUM_OFFSET: 40
; COMPUTE_PGM_RSRC3_GFX90A:TG_SPLIT: 0
	.text
	.p2alignl 6, 3212836864
	.fill 256, 4, 3212836864
	.type	__hip_cuid_710312f8cc94f4e5,@object ; @__hip_cuid_710312f8cc94f4e5
	.section	.bss,"aw",@nobits
	.globl	__hip_cuid_710312f8cc94f4e5
__hip_cuid_710312f8cc94f4e5:
	.byte	0                               ; 0x0
	.size	__hip_cuid_710312f8cc94f4e5, 1

	.ident	"AMD clang version 19.0.0git (https://github.com/RadeonOpenCompute/llvm-project roc-6.4.0 25133 c7fe45cf4b819c5991fe208aaa96edf142730f1d)"
	.section	".note.GNU-stack","",@progbits
	.addrsig
	.addrsig_sym __hip_cuid_710312f8cc94f4e5
	.amdgpu_metadata
---
amdhsa.kernels:
  - .agpr_count:     0
    .args:
      - .actual_access:  read_only
        .address_space:  global
        .offset:         0
        .size:           8
        .value_kind:     global_buffer
      - .offset:         8
        .size:           8
        .value_kind:     by_value
      - .actual_access:  read_only
        .address_space:  global
        .offset:         16
        .size:           8
        .value_kind:     global_buffer
      - .actual_access:  read_only
        .address_space:  global
        .offset:         24
        .size:           8
        .value_kind:     global_buffer
      - .actual_access:  read_only
        .address_space:  global
        .offset:         32
        .size:           8
        .value_kind:     global_buffer
      - .offset:         40
        .size:           8
        .value_kind:     by_value
      - .actual_access:  read_only
        .address_space:  global
        .offset:         48
        .size:           8
        .value_kind:     global_buffer
      - .actual_access:  read_only
        .address_space:  global
        .offset:         56
        .size:           8
        .value_kind:     global_buffer
      - .offset:         64
        .size:           4
        .value_kind:     by_value
      - .actual_access:  read_only
        .address_space:  global
        .offset:         72
        .size:           8
        .value_kind:     global_buffer
      - .actual_access:  read_only
        .address_space:  global
        .offset:         80
        .size:           8
        .value_kind:     global_buffer
      - .actual_access:  read_only
        .address_space:  global
        .offset:         88
        .size:           8
        .value_kind:     global_buffer
      - .actual_access:  write_only
        .address_space:  global
        .offset:         96
        .size:           8
        .value_kind:     global_buffer
    .group_segment_fixed_size: 0
    .kernarg_segment_align: 8
    .kernarg_segment_size: 104
    .language:       OpenCL C
    .language_version:
      - 2
      - 0
    .max_flat_workgroup_size: 100
    .name:           fft_rtc_fwd_len3000_factors_10_3_10_10_wgs_100_tpt_100_halfLds_sp_op_CI_CI_unitstride_sbrr_C2R_dirReg
    .private_segment_fixed_size: 0
    .sgpr_count:     34
    .sgpr_spill_count: 0
    .symbol:         fft_rtc_fwd_len3000_factors_10_3_10_10_wgs_100_tpt_100_halfLds_sp_op_CI_CI_unitstride_sbrr_C2R_dirReg.kd
    .uniform_work_group_size: 1
    .uses_dynamic_stack: false
    .vgpr_count:     164
    .vgpr_spill_count: 0
    .wavefront_size: 64
amdhsa.target:   amdgcn-amd-amdhsa--gfx950
amdhsa.version:
  - 1
  - 2
...

	.end_amdgpu_metadata
